;; amdgpu-corpus repo=ROCm/rocFFT kind=compiled arch=gfx1201 opt=O3
	.text
	.amdgcn_target "amdgcn-amd-amdhsa--gfx1201"
	.amdhsa_code_object_version 6
	.protected	bluestein_single_back_len800_dim1_sp_op_CI_CI ; -- Begin function bluestein_single_back_len800_dim1_sp_op_CI_CI
	.globl	bluestein_single_back_len800_dim1_sp_op_CI_CI
	.p2align	8
	.type	bluestein_single_back_len800_dim1_sp_op_CI_CI,@function
bluestein_single_back_len800_dim1_sp_op_CI_CI: ; @bluestein_single_back_len800_dim1_sp_op_CI_CI
; %bb.0:
	s_load_b128 s[8:11], s[0:1], 0x28
	v_mul_u32_u24_e32 v1, 0x19a, v0
	s_mov_b32 s2, exec_lo
	v_mov_b32_e32 v60, 0
	s_delay_alu instid0(VALU_DEP_2) | instskip(NEXT) | instid1(VALU_DEP_1)
	v_lshrrev_b32_e32 v1, 16, v1
	v_add_nc_u32_e32 v59, ttmp9, v1
	s_wait_kmcnt 0x0
	s_delay_alu instid0(VALU_DEP_1)
	v_cmpx_gt_u64_e64 s[8:9], v[59:60]
	s_cbranch_execz .LBB0_23
; %bb.1:
	s_clause 0x1
	s_load_b64 s[8:9], s[0:1], 0x0
	s_load_b64 s[12:13], s[0:1], 0x38
	v_mul_lo_u16 v1, 0xa0, v1
	s_delay_alu instid0(VALU_DEP_1) | instskip(NEXT) | instid1(VALU_DEP_1)
	v_sub_nc_u16 v0, v0, v1
	v_and_b32_e32 v63, 0xffff, v0
	v_cmp_gt_u16_e32 vcc_lo, 50, v0
	s_delay_alu instid0(VALU_DEP_2)
	v_lshlrev_b32_e32 v62, 3, v63
	s_and_saveexec_b32 s3, vcc_lo
	s_cbranch_execz .LBB0_3
; %bb.2:
	s_load_b64 s[4:5], s[0:1], 0x18
	s_delay_alu instid0(VALU_DEP_1)
	v_add_nc_u32_e32 v58, 0x800, v62
	v_add_nc_u32_e32 v70, 0xc00, v62
	s_wait_kmcnt 0x0
	s_load_b128 s[4:7], s[4:5], 0x0
	s_wait_kmcnt 0x0
	v_mad_co_u64_u32 v[0:1], null, s6, v59, 0
	v_mad_co_u64_u32 v[2:3], null, s4, v63, 0
	s_delay_alu instid0(VALU_DEP_1) | instskip(NEXT) | instid1(VALU_DEP_1)
	v_mad_co_u64_u32 v[4:5], null, s7, v59, v[1:2]
	v_mad_co_u64_u32 v[5:6], null, s5, v63, v[3:4]
	v_mov_b32_e32 v1, v4
	s_mul_u64 s[4:5], s[4:5], 0x190
	s_delay_alu instid0(VALU_DEP_1) | instskip(NEXT) | instid1(VALU_DEP_3)
	v_lshlrev_b64_e32 v[0:1], 3, v[0:1]
	v_mov_b32_e32 v3, v5
	s_clause 0x3
	global_load_b64 v[4:5], v62, s[8:9]
	global_load_b64 v[6:7], v62, s[8:9] offset:400
	global_load_b64 v[8:9], v62, s[8:9] offset:800
	;; [unrolled: 1-line block ×3, first 2 shown]
	v_lshlrev_b64_e32 v[2:3], 3, v[2:3]
	v_add_co_u32 v18, s2, s10, v0
	s_delay_alu instid0(VALU_DEP_1)
	v_add_co_ci_u32_e64 v19, s2, s11, v1, s2
	s_clause 0x3
	global_load_b64 v[0:1], v62, s[8:9] offset:1600
	global_load_b64 v[12:13], v62, s[8:9] offset:2000
	global_load_b64 v[14:15], v62, s[8:9] offset:2400
	global_load_b64 v[16:17], v62, s[8:9] offset:2800
	v_add_co_u32 v2, s2, v18, v2
	s_wait_alu 0xf1ff
	v_add_co_ci_u32_e64 v3, s2, v19, v3, s2
	s_clause 0x3
	global_load_b64 v[20:21], v62, s[8:9] offset:3200
	global_load_b64 v[22:23], v62, s[8:9] offset:3600
	;; [unrolled: 1-line block ×4, first 2 shown]
	s_wait_alu 0xfffe
	v_add_co_u32 v18, s2, v2, s4
	s_wait_alu 0xf1ff
	v_add_co_ci_u32_e64 v19, s2, s5, v3, s2
	s_clause 0x1
	global_load_b64 v[30:31], v62, s[8:9] offset:4800
	global_load_b64 v[32:33], v62, s[8:9] offset:5200
	v_add_co_u32 v28, s2, v18, s4
	s_wait_alu 0xf1ff
	v_add_co_ci_u32_e64 v29, s2, s5, v19, s2
	global_load_b64 v[2:3], v[2:3], off
	v_add_co_u32 v34, s2, v28, s4
	s_wait_alu 0xf1ff
	v_add_co_ci_u32_e64 v35, s2, s5, v29, s2
	s_delay_alu instid0(VALU_DEP_2) | instskip(SKIP_1) | instid1(VALU_DEP_2)
	v_add_co_u32 v36, s2, v34, s4
	s_wait_alu 0xf1ff
	v_add_co_ci_u32_e64 v37, s2, s5, v35, s2
	s_clause 0x2
	global_load_b64 v[18:19], v[18:19], off
	global_load_b64 v[28:29], v[28:29], off
	;; [unrolled: 1-line block ×3, first 2 shown]
	v_add_co_u32 v38, s2, v36, s4
	s_wait_alu 0xf1ff
	v_add_co_ci_u32_e64 v39, s2, s5, v37, s2
	global_load_b64 v[36:37], v[36:37], off
	v_add_co_u32 v40, s2, v38, s4
	s_wait_alu 0xf1ff
	v_add_co_ci_u32_e64 v41, s2, s5, v39, s2
	global_load_b64 v[38:39], v[38:39], off
	;; [unrolled: 4-line block ×11, first 2 shown]
	s_clause 0x1
	global_load_b64 v[64:65], v62, s[8:9] offset:5600
	global_load_b64 v[66:67], v62, s[8:9] offset:6000
	global_load_b64 v[60:61], v[60:61], off
	s_wait_loadcnt 0x11
	v_mul_f32_e32 v68, v3, v5
	v_mul_f32_e32 v5, v2, v5
	s_delay_alu instid0(VALU_DEP_2) | instskip(NEXT) | instid1(VALU_DEP_2)
	v_dual_fmac_f32 v68, v2, v4 :: v_dual_add_nc_u32 v71, 0x1000, v62
	v_fma_f32 v69, v3, v4, -v5
	s_wait_loadcnt 0xf
	v_dual_mul_f32 v2, v19, v7 :: v_dual_mul_f32 v5, v28, v9
	v_dual_mul_f32 v3, v18, v7 :: v_dual_mul_f32 v4, v29, v9
	s_wait_loadcnt 0xe
	s_delay_alu instid0(VALU_DEP_2) | instskip(NEXT) | instid1(VALU_DEP_3)
	v_dual_mul_f32 v7, v35, v11 :: v_dual_fmac_f32 v2, v18, v6
	v_fma_f32 v5, v29, v8, -v5
	s_delay_alu instid0(VALU_DEP_3) | instskip(SKIP_4) | instid1(VALU_DEP_3)
	v_fma_f32 v3, v19, v6, -v3
	s_wait_loadcnt 0xd
	v_dual_mul_f32 v6, v34, v11 :: v_dual_mul_f32 v9, v37, v1
	v_mul_f32_e32 v1, v36, v1
	v_dual_fmac_f32 v4, v28, v8 :: v_dual_fmac_f32 v7, v34, v10
	v_fma_f32 v8, v35, v10, -v6
	s_delay_alu instid0(VALU_DEP_4) | instskip(NEXT) | instid1(VALU_DEP_4)
	v_fmac_f32_e32 v9, v36, v0
	v_fma_f32 v10, v37, v0, -v1
	ds_store_2addr_b64 v62, v[68:69], v[2:3] offset1:50
	ds_store_2addr_b64 v62, v[4:5], v[7:8] offset0:100 offset1:150
	s_wait_loadcnt 0xb
	v_dual_mul_f32 v0, v41, v15 :: v_dual_mul_f32 v11, v39, v13
	s_wait_loadcnt 0xa
	v_mul_f32_e32 v2, v43, v17
	s_delay_alu instid0(VALU_DEP_2)
	v_dual_fmac_f32 v0, v40, v14 :: v_dual_fmac_f32 v11, v38, v12
	v_mul_f32_e32 v1, v40, v15
	v_mul_f32_e32 v3, v42, v17
	s_wait_loadcnt 0x9
	v_mul_f32_e32 v4, v45, v21
	v_mul_f32_e32 v13, v38, v13
	v_fmac_f32_e32 v2, v42, v16
	v_fma_f32 v1, v41, v14, -v1
	s_delay_alu instid0(VALU_DEP_4) | instskip(NEXT) | instid1(VALU_DEP_4)
	v_fmac_f32_e32 v4, v44, v20
	v_fma_f32 v12, v39, v12, -v13
	s_wait_loadcnt 0x8
	v_mul_f32_e32 v7, v46, v23
	v_dual_mul_f32 v6, v47, v23 :: v_dual_mul_f32 v5, v44, v21
	s_wait_loadcnt 0x7
	v_mul_f32_e32 v8, v49, v25
	ds_store_2addr_b64 v62, v[9:10], v[11:12] offset0:200 offset1:250
	v_mul_f32_e32 v9, v48, v25
	v_fma_f32 v3, v43, v16, -v3
	v_fmac_f32_e32 v6, v46, v22
	s_wait_loadcnt 0x6
	v_mul_f32_e32 v10, v51, v27
	v_dual_fmac_f32 v8, v48, v24 :: v_dual_mul_f32 v11, v50, v27
	v_fma_f32 v5, v45, v20, -v5
	v_fma_f32 v7, v47, v22, -v7
	s_wait_loadcnt 0x5
	v_mul_f32_e32 v12, v53, v31
	v_dual_mul_f32 v13, v52, v31 :: v_dual_fmac_f32 v10, v50, v26
	v_fma_f32 v9, v49, v24, -v9
	v_fma_f32 v11, v51, v26, -v11
	s_wait_loadcnt 0x4
	v_mul_f32_e32 v14, v55, v33
	v_dual_mul_f32 v15, v54, v33 :: v_dual_fmac_f32 v12, v52, v30
	s_wait_loadcnt 0x2
	v_mul_f32_e32 v16, v57, v65
	v_mul_f32_e32 v17, v56, v65
	s_wait_loadcnt 0x0
	v_dual_mul_f32 v19, v60, v67 :: v_dual_fmac_f32 v14, v54, v32
	v_mul_f32_e32 v18, v61, v67
	v_fma_f32 v13, v53, v30, -v13
	v_fma_f32 v15, v55, v32, -v15
	v_fmac_f32_e32 v16, v56, v64
	v_fma_f32 v17, v57, v64, -v17
	v_fmac_f32_e32 v18, v60, v66
	v_fma_f32 v19, v61, v66, -v19
	ds_store_2addr_b64 v58, v[0:1], v[2:3] offset0:44 offset1:94
	ds_store_2addr_b64 v58, v[4:5], v[6:7] offset0:144 offset1:194
	;; [unrolled: 1-line block ×5, first 2 shown]
.LBB0_3:
	s_or_b32 exec_lo, exec_lo, s3
	s_clause 0x1
	s_load_b64 s[4:5], s[0:1], 0x20
	s_load_b64 s[2:3], s[0:1], 0x8
	global_wb scope:SCOPE_SE
	s_wait_dscnt 0x0
	s_wait_kmcnt 0x0
	s_barrier_signal -1
	s_barrier_wait -1
	global_inv scope:SCOPE_SE
                                        ; implicit-def: $vgpr14
                                        ; implicit-def: $vgpr22
                                        ; implicit-def: $vgpr18
                                        ; implicit-def: $vgpr30
                                        ; implicit-def: $vgpr10
                                        ; implicit-def: $vgpr26
                                        ; implicit-def: $vgpr6
                                        ; implicit-def: $vgpr2
	s_and_saveexec_b32 s0, vcc_lo
	s_cbranch_execz .LBB0_5
; %bb.4:
	v_add_nc_u32_e32 v12, 0x800, v62
	v_add_nc_u32_e32 v13, 0xc00, v62
	;; [unrolled: 1-line block ×3, first 2 shown]
	ds_load_2addr_b64 v[0:3], v62 offset1:50
	ds_load_2addr_b64 v[4:7], v62 offset0:100 offset1:150
	ds_load_2addr_b64 v[24:27], v62 offset0:200 offset1:250
	;; [unrolled: 1-line block ×7, first 2 shown]
.LBB0_5:
	s_wait_alu 0xfffe
	s_or_b32 exec_lo, exec_lo, s0
	s_wait_dscnt 0x3
	v_dual_sub_f32 v28, v0, v28 :: v_dual_sub_f32 v29, v1, v29
	s_wait_dscnt 0x1
	v_dual_sub_f32 v20, v24, v20 :: v_dual_sub_f32 v21, v25, v21
	v_dual_sub_f32 v16, v4, v16 :: v_dual_sub_f32 v17, v5, v17
	s_wait_dscnt 0x0
	v_dual_sub_f32 v12, v8, v12 :: v_dual_sub_f32 v13, v9, v13
	v_fma_f32 v0, v0, 2.0, -v28
	v_fma_f32 v1, v1, 2.0, -v29
	;; [unrolled: 1-line block ×6, first 2 shown]
	v_dual_sub_f32 v30, v2, v30 :: v_dual_sub_f32 v31, v3, v31
	v_fma_f32 v8, v8, 2.0, -v12
	v_dual_sub_f32 v22, v26, v22 :: v_dual_sub_f32 v23, v27, v23
	v_fma_f32 v9, v9, 2.0, -v13
	v_dual_sub_f32 v18, v6, v18 :: v_dual_sub_f32 v19, v7, v19
	v_dual_sub_f32 v14, v10, v14 :: v_dual_sub_f32 v15, v11, v15
	v_fma_f32 v2, v2, 2.0, -v30
	v_fma_f32 v3, v3, 2.0, -v31
	;; [unrolled: 1-line block ×7, first 2 shown]
	v_dual_sub_f32 v24, v0, v24 :: v_dual_sub_f32 v25, v1, v25
	v_fma_f32 v11, v11, 2.0, -v15
	v_dual_sub_f32 v21, v28, v21 :: v_dual_sub_f32 v26, v2, v26
	v_dual_sub_f32 v8, v4, v8 :: v_dual_sub_f32 v9, v5, v9
	v_dual_sub_f32 v13, v16, v13 :: v_dual_add_f32 v22, v22, v31
	v_add_f32_e32 v12, v12, v17
	v_dual_add_f32 v20, v20, v29 :: v_dual_sub_f32 v27, v3, v27
	v_fma_f32 v32, v0, 2.0, -v24
	v_fma_f32 v33, v1, 2.0, -v25
	v_fma_f32 v28, v28, 2.0, -v21
	v_fma_f32 v0, v4, 2.0, -v8
	v_fma_f32 v1, v5, 2.0, -v9
	v_fma_f32 v4, v16, 2.0, -v13
	v_fma_f32 v5, v17, 2.0, -v12
	v_sub_f32_e32 v17, v30, v23
	v_dual_sub_f32 v10, v6, v10 :: v_dual_sub_f32 v11, v7, v11
	s_delay_alu instid0(VALU_DEP_4)
	v_dual_sub_f32 v15, v18, v15 :: v_dual_fmamk_f32 v40, v4, 0xbf3504f3, v28
	v_add_f32_e32 v14, v14, v19
	v_dual_fmamk_f32 v46, v13, 0x3f3504f3, v21 :: v_dual_add_f32 v45, v8, v25
	v_fma_f32 v29, v29, 2.0, -v20
	v_fma_f32 v23, v3, 2.0, -v27
	;; [unrolled: 1-line block ×7, first 2 shown]
	v_dual_sub_f32 v0, v32, v0 :: v_dual_fmamk_f32 v41, v5, 0xbf3504f3, v29
	v_sub_f32_e32 v3, v33, v1
	v_fma_f32 v19, v19, 2.0, -v14
	v_fmamk_f32 v47, v12, 0x3f3504f3, v20
	v_fma_f32 v7, v25, 2.0, -v45
	v_add_f32_e32 v10, v10, v27
	v_fma_f32 v16, v2, 2.0, -v26
	v_fma_f32 v1, v32, 2.0, -v0
	v_fmac_f32_e32 v47, 0x3f3504f3, v13
	v_dual_fmamk_f32 v13, v18, 0xbf3504f3, v30 :: v_dual_fmamk_f32 v32, v19, 0xbf3504f3, v31
	v_fmac_f32_e32 v46, 0xbf3504f3, v12
	v_fma_f32 v27, v27, 2.0, -v10
	v_fmac_f32_e32 v40, 0xbf3504f3, v5
	v_dual_fmac_f32 v41, 0x3f3504f3, v4 :: v_dual_sub_f32 v44, v24, v9
	v_sub_f32_e32 v12, v16, v34
	v_fma_f32 v9, v20, 2.0, -v47
	v_fmac_f32_e32 v13, 0xbf3504f3, v19
	v_fma_f32 v8, v21, 2.0, -v46
	v_dual_sub_f32 v21, v23, v35 :: v_dual_fmac_f32 v32, 0x3f3504f3, v18
	v_dual_sub_f32 v11, v26, v11 :: v_dual_fmamk_f32 v18, v15, 0x3f3504f3, v17
	v_fmamk_f32 v25, v27, 0xbf3504f3, v7
	v_fmamk_f32 v20, v14, 0x3f3504f3, v22
	v_fma_f32 v2, v33, 2.0, -v3
	v_fma_f32 v4, v28, 2.0, -v40
	;; [unrolled: 1-line block ×7, first 2 shown]
	v_fmac_f32_e32 v18, 0xbf3504f3, v14
	v_dual_fmac_f32 v20, 0x3f3504f3, v15 :: v_dual_fmamk_f32 v33, v10, 0x3f3504f3, v45
	v_fma_f32 v14, v31, 2.0, -v32
	v_fma_f32 v15, v26, 2.0, -v11
	v_dual_fmamk_f32 v38, v23, 0xbf6c835e, v4 :: v_dual_add_f32 v29, v12, v3
	s_delay_alu instid0(VALU_DEP_4) | instskip(NEXT) | instid1(VALU_DEP_4)
	v_fma_f32 v22, v22, 2.0, -v20
	v_dual_sub_f32 v36, v1, v16 :: v_dual_fmamk_f32 v39, v14, 0xbf6c835e, v6
	s_delay_alu instid0(VALU_DEP_4) | instskip(SKIP_2) | instid1(VALU_DEP_4)
	v_dual_fmamk_f32 v24, v15, 0xbf3504f3, v5 :: v_dual_sub_f32 v37, v2, v19
	v_fma_f32 v17, v17, 2.0, -v18
	v_fmac_f32_e32 v38, 0xbec3ef15, v14
	v_dual_fmac_f32 v39, 0x3ec3ef15, v23 :: v_dual_fmamk_f32 v30, v13, 0x3ec3ef15, v40
	s_delay_alu instid0(VALU_DEP_4)
	v_fmac_f32_e32 v24, 0xbf3504f3, v27
	v_fmamk_f32 v27, v22, 0xbec3ef15, v9
	v_fmamk_f32 v31, v32, 0x3ec3ef15, v41
	;; [unrolled: 1-line block ×3, first 2 shown]
	v_fmac_f32_e32 v30, 0xbf6c835e, v32
	v_fmamk_f32 v32, v11, 0x3f3504f3, v44
	v_fmac_f32_e32 v27, 0x3f6c835e, v17
	v_fmamk_f32 v35, v20, 0x3f6c835e, v47
	v_fmamk_f32 v26, v17, 0xbec3ef15, v8
	v_dual_sub_f32 v28, v0, v21 :: v_dual_fmac_f32 v33, 0x3f3504f3, v11
	v_fmac_f32_e32 v31, 0x3f6c835e, v13
	v_fmac_f32_e32 v32, 0xbf3504f3, v10
	v_fmac_f32_e32 v34, 0xbec3ef15, v20
	v_fmac_f32_e32 v35, 0x3ec3ef15, v18
	v_fmac_f32_e32 v25, 0x3f3504f3, v15
	v_fmac_f32_e32 v26, 0xbf6c835e, v22
	v_fma_f32 v42, v40, 2.0, -v30
	v_fma_f32 v43, v41, 2.0, -v31
	v_fma_f32 v44, v44, 2.0, -v32
	v_fma_f32 v45, v45, 2.0, -v33
	v_fma_f32 v46, v46, 2.0, -v34
	v_fma_f32 v47, v47, 2.0, -v35
	v_lshlrev_b16 v65, 4, v63
	global_wb scope:SCOPE_SE
	s_barrier_signal -1
	s_barrier_wait -1
	global_inv scope:SCOPE_SE
	s_and_saveexec_b32 s0, vcc_lo
	s_cbranch_execz .LBB0_7
; %bb.6:
	v_fma_f32 v41, v3, 2.0, -v29
	v_and_b32_e32 v3, 0xffff, v65
	v_fma_f32 v13, v6, 2.0, -v39
	v_fma_f32 v12, v4, 2.0, -v38
	;; [unrolled: 1-line block ×4, first 2 shown]
	v_lshlrev_b32_e32 v1, 3, v3
	v_fma_f32 v9, v9, 2.0, -v27
	v_fma_f32 v8, v8, 2.0, -v26
	;; [unrolled: 1-line block ×5, first 2 shown]
	ds_store_b128 v1, v[10:13]
	ds_store_b128 v1, v[6:9] offset:16
	ds_store_b128 v1, v[40:43] offset:32
	;; [unrolled: 1-line block ×7, first 2 shown]
.LBB0_7:
	s_wait_alu 0xfffe
	s_or_b32 exec_lo, exec_lo, s0
	v_and_b32_e32 v11, 15, v63
	s_load_b128 s[4:7], s[4:5], 0x0
	global_wb scope:SCOPE_SE
	s_wait_dscnt 0x0
	s_wait_kmcnt 0x0
	s_barrier_signal -1
	s_barrier_wait -1
	v_lshlrev_b32_e32 v0, 5, v11
	global_inv scope:SCOPE_SE
	v_lshrrev_b32_e32 v16, 4, v63
	v_cmp_gt_u16_e64 s0, 0x50, v63
	s_clause 0x1
	global_load_b128 v[20:23], v0, s[2:3]
	global_load_b128 v[12:15], v0, s[2:3] offset:16
	v_add_nc_u32_e32 v0, 0x800, v62
	v_mul_u32_u24_e32 v16, 0x50, v16
	ds_load_2addr_b64 v[1:4], v62 offset1:160
	ds_load_2addr_b64 v[5:8], v0 offset0:64 offset1:224
	ds_load_b64 v[9:10], v62 offset:5120
	v_or_b32_e32 v11, v16, v11
	global_wb scope:SCOPE_SE
	s_wait_loadcnt_dscnt 0x0
	s_barrier_signal -1
	s_barrier_wait -1
	global_inv scope:SCOPE_SE
	v_dual_mul_f32 v11, v4, v21 :: v_dual_lshlrev_b32 v64, 3, v11
	v_mul_f32_e32 v19, v8, v13
	v_dual_mul_f32 v16, v3, v21 :: v_dual_mul_f32 v17, v6, v23
	v_dual_mul_f32 v48, v7, v13 :: v_dual_mul_f32 v49, v9, v15
	s_delay_alu instid0(VALU_DEP_4) | instskip(SKIP_1) | instid1(VALU_DEP_4)
	v_fma_f32 v3, v3, v20, -v11
	v_mul_f32_e32 v18, v5, v23
	v_fmac_f32_e32 v16, v4, v20
	v_fma_f32 v4, v5, v22, -v17
	v_fma_f32 v5, v7, v12, -v19
	v_add_f32_e32 v7, v1, v3
	v_fmac_f32_e32 v49, v10, v14
	v_mul_f32_e32 v40, v10, v15
	v_dual_fmac_f32 v18, v6, v22 :: v_dual_sub_f32 v11, v3, v4
	v_sub_f32_e32 v41, v4, v3
	s_delay_alu instid0(VALU_DEP_4) | instskip(NEXT) | instid1(VALU_DEP_4)
	v_add_f32_e32 v55, v16, v49
	v_fma_f32 v6, v9, v14, -v40
	v_fmac_f32_e32 v48, v8, v12
	v_add_f32_e32 v8, v4, v5
	v_sub_f32_e32 v9, v16, v49
	v_add_f32_e32 v51, v2, v16
	v_add_f32_e32 v19, v3, v6
	v_sub_f32_e32 v17, v6, v5
	v_sub_f32_e32 v10, v18, v48
	;; [unrolled: 1-line block ×3, first 2 shown]
	v_dual_add_f32 v52, v18, v48 :: v_dual_sub_f32 v3, v3, v6
	v_sub_f32_e32 v60, v4, v5
	v_dual_sub_f32 v53, v16, v18 :: v_dual_sub_f32 v54, v49, v48
	v_sub_f32_e32 v16, v18, v16
	v_sub_f32_e32 v56, v48, v49
	v_fma_f32 v40, -0.5, v8, v1
	v_add_f32_e32 v4, v7, v4
	v_fma_f32 v57, -0.5, v19, v1
	v_add_f32_e32 v1, v41, v50
	v_fma_f32 v41, -0.5, v52, v2
	v_fma_f32 v58, -0.5, v55, v2
	v_add_f32_e32 v7, v11, v17
	v_dual_add_f32 v8, v51, v18 :: v_dual_fmamk_f32 v55, v10, 0xbf737871, v57
	v_dual_add_f32 v11, v53, v54 :: v_dual_add_f32 v2, v16, v56
	v_dual_fmamk_f32 v53, v9, 0x3f737871, v40 :: v_dual_add_f32 v4, v4, v5
	v_fmac_f32_e32 v57, 0x3f737871, v10
	s_delay_alu instid0(VALU_DEP_4) | instskip(NEXT) | instid1(VALU_DEP_3)
	v_dual_fmac_f32 v40, 0xbf737871, v9 :: v_dual_add_f32 v5, v8, v48
	v_dual_fmamk_f32 v54, v3, 0xbf737871, v41 :: v_dual_add_f32 v51, v4, v6
	v_dual_fmac_f32 v41, 0x3f737871, v3 :: v_dual_fmamk_f32 v56, v60, 0x3f737871, v58
	v_fmac_f32_e32 v58, 0xbf737871, v60
	s_delay_alu instid0(VALU_DEP_4) | instskip(SKIP_1) | instid1(VALU_DEP_3)
	v_dual_fmac_f32 v53, 0x3f167918, v10 :: v_dual_add_f32 v52, v5, v49
	v_dual_fmac_f32 v40, 0xbf167918, v10 :: v_dual_fmac_f32 v57, 0xbf167918, v9
	v_dual_fmac_f32 v55, 0x3f167918, v9 :: v_dual_fmac_f32 v58, 0x3f167918, v3
	v_fmac_f32_e32 v54, 0xbf167918, v60
	v_fmac_f32_e32 v41, 0x3f167918, v60
	;; [unrolled: 1-line block ×4, first 2 shown]
	v_dual_fmac_f32 v40, 0x3e9e377a, v7 :: v_dual_fmac_f32 v55, 0x3e9e377a, v1
	v_dual_fmac_f32 v57, 0x3e9e377a, v1 :: v_dual_fmac_f32 v54, 0x3e9e377a, v11
	s_delay_alu instid0(VALU_DEP_4)
	v_fmac_f32_e32 v56, 0x3e9e377a, v2
	v_dual_fmac_f32 v58, 0x3e9e377a, v2 :: v_dual_fmac_f32 v41, 0x3e9e377a, v11
	ds_store_2addr_b64 v64, v[51:52], v[53:54] offset1:16
	ds_store_2addr_b64 v64, v[55:56], v[57:58] offset0:32 offset1:48
	ds_store_b64 v64, v[40:41] offset:512
	global_wb scope:SCOPE_SE
	s_wait_dscnt 0x0
	s_barrier_signal -1
	s_barrier_wait -1
	global_inv scope:SCOPE_SE
	s_and_saveexec_b32 s1, s0
	s_cbranch_execz .LBB0_9
; %bb.8:
	v_add_nc_u32_e32 v1, 0xc00, v62
	v_add_nc_u32_e32 v2, 0x1000, v62
	ds_load_2addr_b64 v[51:54], v62 offset1:80
	ds_load_2addr_b64 v[55:58], v62 offset0:160 offset1:240
	ds_load_2addr_b64 v[40:43], v0 offset0:64 offset1:144
	;; [unrolled: 1-line block ×4, first 2 shown]
.LBB0_9:
	s_wait_alu 0xfffe
	s_or_b32 exec_lo, exec_lo, s1
	v_add_nc_u32_e32 v0, 0xffffffb0, v63
	s_delay_alu instid0(VALU_DEP_1) | instskip(NEXT) | instid1(VALU_DEP_1)
	v_cndmask_b32_e64 v0, v0, v63, s0
	v_mul_i32_i24_e32 v1, 0x48, v0
	v_mul_hi_i32_i24_e32 v0, 0x48, v0
	s_delay_alu instid0(VALU_DEP_2) | instskip(SKIP_1) | instid1(VALU_DEP_2)
	v_add_co_u32 v48, s1, s2, v1
	s_wait_alu 0xf1ff
	v_add_co_ci_u32_e64 v49, s1, s3, v0, s1
	s_clause 0x4
	global_load_b128 v[4:7], v[48:49], off offset:512
	global_load_b128 v[0:3], v[48:49], off offset:528
	;; [unrolled: 1-line block ×4, first 2 shown]
	global_load_b64 v[60:61], v[48:49], off offset:576
	s_wait_loadcnt_dscnt 0x404
	v_mul_f32_e32 v49, v53, v5
	s_wait_loadcnt_dscnt 0x302
	v_dual_mul_f32 v48, v54, v5 :: v_dual_mul_f32 v69, v41, v3
	v_dual_mul_f32 v50, v56, v7 :: v_dual_mul_f32 v67, v58, v1
	s_wait_loadcnt 0x2
	v_dual_mul_f32 v70, v40, v3 :: v_dual_mul_f32 v71, v43, v17
	s_wait_dscnt 0x1
	v_dual_mul_f32 v72, v42, v17 :: v_dual_mul_f32 v73, v45, v19
	s_wait_loadcnt_dscnt 0x100
	v_dual_mul_f32 v76, v46, v9 :: v_dual_mul_f32 v77, v37, v11
	s_wait_loadcnt 0x0
	v_dual_mul_f32 v78, v36, v11 :: v_dual_mul_f32 v79, v39, v61
	v_fma_f32 v48, v53, v4, -v48
	v_fma_f32 v53, v57, v0, -v67
	;; [unrolled: 1-line block ×3, first 2 shown]
	v_fmac_f32_e32 v70, v41, v2
	v_fma_f32 v41, v42, v16, -v71
	v_fma_f32 v42, v44, v18, -v73
	v_mul_f32_e32 v68, v57, v1
	v_fma_f32 v36, v36, v10, -v77
	v_mul_f32_e32 v80, v38, v61
	v_dual_mul_f32 v66, v55, v7 :: v_dual_fmac_f32 v49, v54, v4
	v_dual_mul_f32 v74, v44, v19 :: v_dual_mul_f32 v75, v47, v9
	v_fma_f32 v50, v55, v6, -v50
	v_dual_fmac_f32 v76, v47, v8 :: v_dual_sub_f32 v47, v36, v42
	v_dual_fmac_f32 v80, v39, v60 :: v_dual_sub_f32 v67, v40, v42
	v_dual_add_f32 v39, v40, v42 :: v_dual_fmac_f32 v68, v58, v0
	s_delay_alu instid0(VALU_DEP_4) | instskip(SKIP_2) | instid1(VALU_DEP_4)
	v_sub_f32_e32 v55, v40, v50
	v_dual_fmac_f32 v74, v45, v18 :: v_dual_add_f32 v77, v48, v53
	v_sub_f32_e32 v83, v53, v41
	v_sub_f32_e32 v81, v68, v80
	s_delay_alu instid0(VALU_DEP_3) | instskip(SKIP_4) | instid1(VALU_DEP_4)
	v_dual_fmac_f32 v72, v43, v16 :: v_dual_sub_f32 v45, v70, v74
	v_fma_f32 v43, v46, v8, -v75
	v_fmac_f32_e32 v66, v56, v6
	v_fmac_f32_e32 v78, v37, v10
	v_fma_f32 v37, v38, v60, -v79
	v_dual_sub_f32 v46, v50, v40 :: v_dual_add_f32 v79, v41, v43
	s_delay_alu instid0(VALU_DEP_4) | instskip(SKIP_1) | instid1(VALU_DEP_4)
	v_add_f32_e32 v57, v52, v66
	v_dual_sub_f32 v69, v66, v70 :: v_dual_sub_f32 v82, v72, v76
	v_sub_f32_e32 v87, v43, v37
	v_dual_sub_f32 v71, v78, v74 :: v_dual_sub_f32 v84, v37, v43
	v_add_f32_e32 v38, v51, v50
	v_dual_sub_f32 v44, v66, v78 :: v_dual_add_f32 v85, v53, v37
	v_add_f32_e32 v54, v50, v36
	v_dual_add_f32 v58, v70, v74 :: v_dual_add_f32 v89, v72, v76
	v_dual_add_f32 v73, v66, v78 :: v_dual_sub_f32 v86, v41, v53
	v_dual_sub_f32 v53, v53, v37 :: v_dual_sub_f32 v92, v80, v76
	v_fma_f32 v95, -0.5, v39, v51
	v_add_f32_e32 v39, v46, v47
	v_dual_add_f32 v47, v69, v71 :: v_dual_sub_f32 v56, v42, v36
	v_dual_fmac_f32 v51, -0.5, v54 :: v_dual_sub_f32 v50, v50, v36
	v_dual_sub_f32 v66, v70, v66 :: v_dual_sub_f32 v91, v68, v72
	v_dual_sub_f32 v75, v74, v78 :: v_dual_add_f32 v88, v49, v68
	v_dual_sub_f32 v90, v41, v43 :: v_dual_add_f32 v93, v68, v80
	v_dual_add_f32 v38, v38, v40 :: v_dual_fmamk_f32 v71, v44, 0x3f737871, v95
	v_dual_add_f32 v41, v77, v41 :: v_dual_add_f32 v40, v55, v56
	v_fma_f32 v56, -0.5, v58, v52
	v_dual_add_f32 v46, v57, v70 :: v_dual_add_f32 v57, v83, v84
	v_dual_fmac_f32 v52, -0.5, v73 :: v_dual_fmac_f32 v95, 0xbf737871, v44
	v_fma_f32 v55, -0.5, v79, v48
	v_add_f32_e32 v54, v66, v75
	v_dual_fmac_f32 v48, -0.5, v85 :: v_dual_add_f32 v41, v41, v43
	v_dual_add_f32 v66, v88, v72 :: v_dual_fmamk_f32 v73, v50, 0xbf737871, v56
	v_sub_f32_e32 v68, v72, v68
	v_fma_f32 v69, -0.5, v89, v49
	v_dual_fmac_f32 v49, -0.5, v93 :: v_dual_add_f32 v38, v38, v42
	v_dual_fmac_f32 v95, 0xbf167918, v45 :: v_dual_add_f32 v42, v46, v74
	v_fmamk_f32 v75, v82, 0xbf737871, v48
	v_dual_add_f32 v46, v66, v76 :: v_dual_fmac_f32 v73, 0xbf167918, v67
	v_dual_sub_f32 v94, v76, v80 :: v_dual_fmamk_f32 v43, v81, 0x3f737871, v55
	s_delay_alu instid0(VALU_DEP_4) | instskip(SKIP_1) | instid1(VALU_DEP_4)
	v_add_f32_e32 v42, v42, v78
	v_fmamk_f32 v72, v45, 0xbf737871, v51
	v_fmac_f32_e32 v73, 0x3e9e377a, v47
	v_fmamk_f32 v76, v90, 0x3f737871, v49
	v_dual_add_f32 v58, v86, v87 :: v_dual_fmac_f32 v55, 0xbf737871, v81
	v_dual_fmac_f32 v51, 0x3f737871, v45 :: v_dual_add_f32 v68, v68, v94
	v_dual_fmac_f32 v71, 0x3f167918, v45 :: v_dual_fmac_f32 v72, 0x3f167918, v44
	v_fmac_f32_e32 v75, 0x3f167918, v81
	v_fmac_f32_e32 v76, 0xbf167918, v53
	v_add_f32_e32 v70, v91, v92
	v_dual_fmac_f32 v56, 0x3f737871, v50 :: v_dual_add_f32 v41, v41, v37
	s_delay_alu instid0(VALU_DEP_3) | instskip(SKIP_4) | instid1(VALU_DEP_3)
	v_dual_fmac_f32 v75, 0x3e9e377a, v58 :: v_dual_fmac_f32 v76, 0x3e9e377a, v68
	v_fmamk_f32 v66, v53, 0xbf737871, v69
	v_dual_fmac_f32 v69, 0x3f737871, v53 :: v_dual_fmac_f32 v48, 0x3f737871, v82
	v_fmac_f32_e32 v49, 0xbf737871, v90
	v_fmac_f32_e32 v51, 0xbf167918, v44
	v_dual_fmac_f32 v56, 0x3f167918, v67 :: v_dual_fmac_f32 v69, 0x3f167918, v90
	v_dual_add_f32 v44, v46, v80 :: v_dual_fmac_f32 v71, 0x3e9e377a, v39
	v_fmamk_f32 v74, v67, 0x3f737871, v52
	v_fmac_f32_e32 v52, 0xbf737871, v67
	v_dual_add_f32 v38, v38, v36 :: v_dual_fmac_f32 v43, 0x3f167918, v82
	v_fmac_f32_e32 v49, 0x3f167918, v53
	v_fmac_f32_e32 v69, 0x3e9e377a, v70
	s_delay_alu instid0(VALU_DEP_3) | instskip(SKIP_3) | instid1(VALU_DEP_3)
	v_dual_mul_f32 v53, 0x3f737871, v76 :: v_dual_add_f32 v36, v38, v41
	v_dual_fmac_f32 v55, 0xbf167918, v82 :: v_dual_fmac_f32 v48, 0xbf167918, v81
	v_fmac_f32_e32 v43, 0x3e9e377a, v57
	v_dual_fmac_f32 v51, 0x3e9e377a, v40 :: v_dual_fmac_f32 v56, 0x3e9e377a, v47
	v_dual_fmac_f32 v55, 0x3e9e377a, v57 :: v_dual_fmac_f32 v48, 0x3e9e377a, v58
	v_sub_f32_e32 v46, v38, v41
	v_mul_f32_e32 v41, 0x3f4f1bbd, v69
	v_sub_f32_e32 v47, v42, v44
	v_mul_f32_e32 v57, 0xbf737871, v75
	v_fmac_f32_e32 v49, 0x3e9e377a, v68
	v_dual_mul_f32 v38, 0x3e9e377a, v48 :: v_dual_fmac_f32 v53, 0x3e9e377a, v75
	v_fma_f32 v67, 0xbf167918, v55, -v41
	v_fmac_f32_e32 v74, 0xbf167918, v50
	v_fmac_f32_e32 v57, 0x3e9e377a, v76
	v_dual_fmac_f32 v95, 0x3e9e377a, v39 :: v_dual_fmac_f32 v72, 0x3e9e377a, v40
	s_delay_alu instid0(VALU_DEP_3) | instskip(SKIP_3) | instid1(VALU_DEP_4)
	v_dual_add_f32 v45, v56, v67 :: v_dual_fmac_f32 v74, 0x3e9e377a, v54
	v_fmac_f32_e32 v52, 0x3f167918, v50
	v_mul_f32_e32 v40, 0x3e9e377a, v49
	v_fma_f32 v49, 0x3f737871, v49, -v38
	v_dual_fmac_f32 v66, 0xbf167918, v90 :: v_dual_add_f32 v41, v74, v57
	s_delay_alu instid0(VALU_DEP_4) | instskip(NEXT) | instid1(VALU_DEP_3)
	v_dual_fmac_f32 v52, 0x3e9e377a, v54 :: v_dual_add_f32 v37, v42, v44
	v_add_f32_e32 v42, v51, v49
	s_delay_alu instid0(VALU_DEP_3) | instskip(SKIP_2) | instid1(VALU_DEP_3)
	v_fmac_f32_e32 v66, 0x3e9e377a, v70
	v_mul_f32_e32 v39, 0x3f4f1bbd, v55
	v_sub_f32_e32 v56, v56, v67
	v_mul_f32_e32 v50, 0x3f167918, v66
	s_delay_alu instid0(VALU_DEP_3) | instskip(SKIP_1) | instid1(VALU_DEP_2)
	v_fma_f32 v58, 0x3f167918, v69, -v39
	v_mul_f32_e32 v54, 0xbf167918, v43
	v_dual_fmac_f32 v50, 0x3f4f1bbd, v43 :: v_dual_sub_f32 v55, v95, v58
	s_delay_alu instid0(VALU_DEP_2) | instskip(SKIP_2) | instid1(VALU_DEP_4)
	v_fmac_f32_e32 v54, 0x3f4f1bbd, v66
	v_fma_f32 v66, 0xbf737871, v48, -v40
	v_add_f32_e32 v40, v72, v53
	v_add_f32_e32 v38, v71, v50
	;; [unrolled: 1-line block ×5, first 2 shown]
	v_sub_f32_e32 v48, v71, v50
	v_sub_f32_e32 v50, v72, v53
	;; [unrolled: 1-line block ×4, first 2 shown]
	v_dual_sub_f32 v51, v74, v57 :: v_dual_sub_f32 v54, v52, v66
	s_and_saveexec_b32 s1, s0
	s_cbranch_execz .LBB0_11
; %bb.10:
	v_add_nc_u32_e32 v52, 0x800, v62
	v_add_nc_u32_e32 v57, 0xc00, v62
	;; [unrolled: 1-line block ×3, first 2 shown]
	ds_store_2addr_b64 v62, v[36:37], v[38:39] offset1:80
	ds_store_2addr_b64 v62, v[40:41], v[42:43] offset0:160 offset1:240
	ds_store_2addr_b64 v52, v[44:45], v[46:47] offset0:64 offset1:144
	;; [unrolled: 1-line block ×4, first 2 shown]
.LBB0_11:
	s_wait_alu 0xfffe
	s_or_b32 exec_lo, exec_lo, s1
	global_wb scope:SCOPE_SE
	s_wait_dscnt 0x0
	s_barrier_signal -1
	s_barrier_wait -1
	global_inv scope:SCOPE_SE
	s_and_saveexec_b32 s1, vcc_lo
	s_cbranch_execz .LBB0_13
; %bb.12:
	global_load_b64 v[57:58], v62, s[8:9] offset:6400
	s_add_nc_u64 s[2:3], s[8:9], 0x1900
	s_clause 0xe
	global_load_b64 v[66:67], v62, s[2:3] offset:6000
	global_load_b64 v[94:95], v62, s[2:3] offset:400
	global_load_b64 v[96:97], v62, s[2:3] offset:800
	global_load_b64 v[98:99], v62, s[2:3] offset:1200
	global_load_b64 v[100:101], v62, s[2:3] offset:1600
	global_load_b64 v[102:103], v62, s[2:3] offset:2000
	global_load_b64 v[104:105], v62, s[2:3] offset:2400
	global_load_b64 v[106:107], v62, s[2:3] offset:2800
	global_load_b64 v[108:109], v62, s[2:3] offset:3200
	global_load_b64 v[110:111], v62, s[2:3] offset:3600
	global_load_b64 v[112:113], v62, s[2:3] offset:4000
	global_load_b64 v[114:115], v62, s[2:3] offset:4400
	global_load_b64 v[116:117], v62, s[2:3] offset:4800
	global_load_b64 v[118:119], v62, s[2:3] offset:5200
	global_load_b64 v[120:121], v62, s[2:3] offset:5600
	ds_load_b64 v[68:69], v62
	ds_load_b64 v[70:71], v62 offset:6000
	s_wait_loadcnt_dscnt 0xe00
	v_mul_f32_e32 v74, v71, v67
	v_mul_f32_e32 v52, v69, v58
	v_dual_mul_f32 v73, v68, v58 :: v_dual_mul_f32 v58, v70, v67
	s_delay_alu instid0(VALU_DEP_2) | instskip(NEXT) | instid1(VALU_DEP_2)
	v_fma_f32 v72, v68, v57, -v52
	v_fmac_f32_e32 v73, v69, v57
	v_fma_f32 v57, v70, v66, -v74
	s_delay_alu instid0(VALU_DEP_4)
	v_fmac_f32_e32 v58, v71, v66
	ds_store_b64 v62, v[72:73]
	ds_load_2addr_b64 v[66:69], v62 offset0:50 offset1:100
	ds_load_2addr_b64 v[70:73], v62 offset0:150 offset1:200
	v_add_nc_u32_e32 v52, 0x400, v62
	v_add_nc_u32_e32 v123, 0x800, v62
	;; [unrolled: 1-line block ×3, first 2 shown]
	s_wait_loadcnt_dscnt 0xd01
	v_mul_f32_e32 v122, v66, v95
	s_wait_loadcnt_dscnt 0xb00
	v_mul_f32_e32 v127, v71, v99
	ds_load_2addr_b64 v[74:77], v52 offset0:122 offset1:172
	ds_load_2addr_b64 v[78:81], v123 offset0:94 offset1:144
	v_dual_mul_f32 v125, v67, v95 :: v_dual_mul_f32 v126, v69, v97
	v_mul_f32_e32 v95, v68, v97
	v_mul_f32_e32 v97, v70, v99
	ds_load_2addr_b64 v[82:85], v123 offset0:194 offset1:244
	ds_load_2addr_b64 v[86:89], v124 offset0:38 offset1:88
	;; [unrolled: 1-line block ×3, first 2 shown]
	s_wait_loadcnt 0xa
	v_mul_f32_e32 v128, v73, v101
	v_dual_mul_f32 v99, v72, v101 :: v_dual_fmac_f32 v122, v67, v94
	v_fmac_f32_e32 v95, v69, v96
	v_fmac_f32_e32 v97, v71, v98
	s_delay_alu instid0(VALU_DEP_3)
	v_fmac_f32_e32 v99, v73, v100
	s_wait_loadcnt_dscnt 0x904
	v_mul_f32_e32 v129, v75, v103
	s_wait_loadcnt 0x8
	v_dual_mul_f32 v101, v74, v103 :: v_dual_mul_f32 v130, v77, v105
	s_wait_loadcnt_dscnt 0x703
	v_mul_f32_e32 v131, v79, v107
	v_mul_f32_e32 v103, v76, v105
	s_wait_loadcnt 0x6
	v_dual_mul_f32 v105, v78, v107 :: v_dual_mul_f32 v132, v81, v109
	v_mul_f32_e32 v107, v80, v109
	s_wait_loadcnt_dscnt 0x402
	v_dual_mul_f32 v133, v83, v111 :: v_dual_mul_f32 v134, v85, v113
	s_wait_loadcnt_dscnt 0x201
	v_dual_mul_f32 v109, v82, v111 :: v_dual_mul_f32 v136, v89, v117
	v_mul_f32_e32 v111, v84, v113
	s_wait_loadcnt_dscnt 0x0
	v_dual_mul_f32 v135, v87, v115 :: v_dual_mul_f32 v138, v93, v121
	v_mul_f32_e32 v113, v86, v115
	v_mul_f32_e32 v115, v88, v117
	;; [unrolled: 1-line block ×5, first 2 shown]
	v_fma_f32 v121, v66, v94, -v125
	v_fma_f32 v94, v68, v96, -v126
	;; [unrolled: 1-line block ×5, first 2 shown]
	v_fmac_f32_e32 v101, v75, v102
	v_fma_f32 v102, v76, v104, -v130
	v_fmac_f32_e32 v103, v77, v104
	v_fma_f32 v104, v78, v106, -v131
	;; [unrolled: 2-line block ×9, first 2 shown]
	v_fmac_f32_e32 v119, v93, v120
	ds_store_2addr_b64 v62, v[121:122], v[94:95] offset0:50 offset1:100
	ds_store_2addr_b64 v62, v[96:97], v[98:99] offset0:150 offset1:200
	;; [unrolled: 1-line block ×7, first 2 shown]
	ds_store_b64 v62, v[57:58] offset:6000
.LBB0_13:
	s_wait_alu 0xfffe
	s_or_b32 exec_lo, exec_lo, s1
	global_wb scope:SCOPE_SE
	s_wait_dscnt 0x0
	s_barrier_signal -1
	s_barrier_wait -1
	global_inv scope:SCOPE_SE
	s_and_saveexec_b32 s1, vcc_lo
	s_cbranch_execz .LBB0_15
; %bb.14:
	v_add_nc_u32_e32 v24, 0x800, v62
	v_add_nc_u32_e32 v25, 0xc00, v62
	;; [unrolled: 1-line block ×3, first 2 shown]
	ds_load_2addr_b64 v[36:39], v62 offset1:50
	ds_load_2addr_b64 v[40:43], v62 offset0:100 offset1:150
	ds_load_2addr_b64 v[44:47], v62 offset0:200 offset1:250
	;; [unrolled: 1-line block ×7, first 2 shown]
.LBB0_15:
	s_wait_alu 0xfffe
	s_or_b32 exec_lo, exec_lo, s1
	s_wait_dscnt 0x3
	v_dual_sub_f32 v52, v36, v53 :: v_dual_sub_f32 v53, v37, v54
	s_wait_dscnt 0x1
	v_dual_sub_f32 v28, v44, v28 :: v_dual_sub_f32 v29, v45, v29
	v_dual_sub_f32 v24, v40, v24 :: v_dual_sub_f32 v25, v41, v25
	s_delay_alu instid0(VALU_DEP_3) | instskip(NEXT) | instid1(VALU_DEP_3)
	v_fma_f32 v54, v36, 2.0, -v52
	v_fma_f32 v36, v44, 2.0, -v28
	s_wait_dscnt 0x0
	v_sub_f32_e32 v44, v48, v32
	v_fma_f32 v57, v37, 2.0, -v53
	v_fma_f32 v37, v45, 2.0, -v29
	v_sub_f32_e32 v45, v49, v33
	v_fma_f32 v40, v40, 2.0, -v24
	v_dual_sub_f32 v55, v38, v55 :: v_dual_sub_f32 v56, v39, v56
	v_fma_f32 v48, v48, 2.0, -v44
	v_dual_sub_f32 v30, v46, v30 :: v_dual_sub_f32 v31, v47, v31
	v_dual_sub_f32 v26, v42, v26 :: v_dual_sub_f32 v27, v43, v27
	;; [unrolled: 1-line block ×3, first 2 shown]
	v_fma_f32 v41, v41, 2.0, -v25
	v_fma_f32 v49, v49, 2.0, -v45
	;; [unrolled: 1-line block ×7, first 2 shown]
	v_dual_sub_f32 v32, v54, v36 :: v_dual_sub_f32 v33, v57, v37
	v_add_f32_e32 v36, v29, v52
	v_fma_f32 v29, v51, 2.0, -v35
	v_add_f32_e32 v51, v31, v55
	v_sub_f32_e32 v37, v53, v28
	v_dual_sub_f32 v58, v40, v48 :: v_dual_sub_f32 v67, v41, v49
	s_delay_alu instid0(VALU_DEP_4)
	v_dual_add_f32 v68, v45, v24 :: v_dual_sub_f32 v29, v43, v29
	v_sub_f32_e32 v69, v25, v44
	v_fma_f32 v42, v42, 2.0, -v26
	v_fma_f32 v50, v50, 2.0, -v34
	;; [unrolled: 1-line block ×6, first 2 shown]
	v_sub_f32_e32 v44, v38, v46
	v_sub_f32_e32 v46, v39, v47
	v_fma_f32 v66, v53, 2.0, -v37
	v_fma_f32 v24, v24, 2.0, -v68
	;; [unrolled: 1-line block ×3, first 2 shown]
	v_add_f32_e32 v35, v35, v26
	v_fma_f32 v41, v41, 2.0, -v67
	v_sub_f32_e32 v52, v56, v30
	v_dual_sub_f32 v30, v42, v50 :: v_dual_sub_f32 v45, v28, v40
	v_fma_f32 v31, v39, 2.0, -v46
	v_fma_f32 v39, v55, 2.0, -v51
	v_dual_sub_f32 v34, v27, v34 :: v_dual_sub_f32 v53, v54, v41
	v_dual_fmamk_f32 v72, v24, 0xbf3504f3, v57 :: v_dual_fmamk_f32 v73, v25, 0xbf3504f3, v66
	v_fma_f32 v26, v26, 2.0, -v35
	v_fma_f32 v71, v56, 2.0, -v52
	v_fma_f32 v43, v43, 2.0, -v29
	s_delay_alu instid0(VALU_DEP_4)
	v_fmac_f32_e32 v72, 0x3f3504f3, v25
	v_dual_fmac_f32 v73, 0xbf3504f3, v24 :: v_dual_sub_f32 v56, v33, v58
	v_fma_f32 v24, v27, 2.0, -v34
	v_fma_f32 v47, v28, 2.0, -v45
	v_fmamk_f32 v28, v26, 0xbf3504f3, v39
	v_fma_f32 v48, v54, 2.0, -v53
	v_add_f32_e32 v54, v67, v32
	v_dual_add_f32 v67, v29, v44 :: v_dual_fmamk_f32 v40, v24, 0xbf3504f3, v71
	v_sub_f32_e32 v55, v31, v43
	v_fma_f32 v49, v57, 2.0, -v72
	v_fmamk_f32 v57, v68, 0x3f3504f3, v36
	v_fmac_f32_e32 v28, 0x3f3504f3, v24
	v_fma_f32 v38, v38, 2.0, -v44
	v_fma_f32 v42, v42, 2.0, -v30
	;; [unrolled: 1-line block ×3, first 2 shown]
	v_fmac_f32_e32 v57, 0x3f3504f3, v69
	v_fmac_f32_e32 v40, 0xbf3504f3, v26
	v_fma_f32 v25, v31, 2.0, -v55
	v_sub_f32_e32 v58, v38, v42
	v_fmamk_f32 v66, v69, 0x3f3504f3, v37
	v_fmamk_f32 v69, v35, 0x3f3504f3, v51
	v_fma_f32 v31, v39, 2.0, -v28
	v_dual_sub_f32 v25, v48, v25 :: v_dual_fmamk_f32 v70, v34, 0x3f3504f3, v52
	s_delay_alu instid0(VALU_DEP_4)
	v_fmac_f32_e32 v66, 0xbf3504f3, v68
	v_fma_f32 v41, v71, 2.0, -v40
	v_sub_f32_e32 v68, v46, v30
	v_fmamk_f32 v26, v31, 0xbf6c835e, v49
	v_fma_f32 v24, v38, 2.0, -v58
	v_fmac_f32_e32 v69, 0x3f3504f3, v34
	v_fmamk_f32 v27, v41, 0xbf6c835e, v50
	v_fmac_f32_e32 v70, 0xbf3504f3, v35
	v_fmamk_f32 v38, v28, 0x3ec3ef15, v72
	v_fmac_f32_e32 v26, 0x3ec3ef15, v41
	v_dual_fmamk_f32 v41, v68, 0x3f3504f3, v56 :: v_dual_sub_f32 v24, v47, v24
	v_fmamk_f32 v39, v40, 0x3ec3ef15, v73
	s_delay_alu instid0(VALU_DEP_4) | instskip(SKIP_1) | instid1(VALU_DEP_4)
	v_fmac_f32_e32 v38, 0x3f6c835e, v40
	v_fmamk_f32 v40, v67, 0x3f3504f3, v54
	v_fmac_f32_e32 v41, 0xbf3504f3, v67
	v_dual_fmamk_f32 v42, v69, 0x3f6c835e, v57 :: v_dual_fmamk_f32 v43, v70, 0x3f6c835e, v66
	v_fmac_f32_e32 v39, 0xbf6c835e, v28
	s_delay_alu instid0(VALU_DEP_4) | instskip(SKIP_1) | instid1(VALU_DEP_4)
	v_fmac_f32_e32 v40, 0x3f3504f3, v68
	v_fmac_f32_e32 v27, 0xbec3ef15, v31
	;; [unrolled: 1-line block ×4, first 2 shown]
	v_fma_f32 v34, v72, 2.0, -v38
	v_fma_f32 v35, v73, 2.0, -v39
	;; [unrolled: 1-line block ×6, first 2 shown]
	global_wb scope:SCOPE_SE
	s_barrier_signal -1
	s_barrier_wait -1
	global_inv scope:SCOPE_SE
	s_and_saveexec_b32 s1, vcc_lo
	s_cbranch_execz .LBB0_17
; %bb.16:
	v_fma_f32 v51, v51, 2.0, -v69
	v_fma_f32 v57, v36, 2.0, -v57
	;; [unrolled: 1-line block ×8, first 2 shown]
	v_fmamk_f32 v68, v46, 0xbf3504f3, v56
	v_and_b32_e32 v44, 0xffff, v65
	v_fmamk_f32 v69, v51, 0xbec3ef15, v57
	v_dual_sub_f32 v37, v53, v58 :: v_dual_fmamk_f32 v70, v52, 0xbec3ef15, v66
	v_fmamk_f32 v67, v36, 0xbf3504f3, v32
	v_fmac_f32_e32 v68, 0xbf3504f3, v36
	v_lshlrev_b32_e32 v44, 3, v44
	v_dual_fmac_f32 v69, 0x3f6c835e, v52 :: v_dual_add_f32 v36, v55, v45
	v_fmac_f32_e32 v70, 0xbf6c835e, v51
	v_fmac_f32_e32 v67, 0x3f3504f3, v46
	v_fma_f32 v51, v56, 2.0, -v68
	s_delay_alu instid0(VALU_DEP_4)
	v_fma_f32 v52, v57, 2.0, -v69
	v_fma_f32 v57, v50, 2.0, -v27
	;; [unrolled: 1-line block ×9, first 2 shown]
	ds_store_b128 v44, v[54:57]
	ds_store_b128 v44, v[50:53] offset:16
	ds_store_b128 v44, v[32:35] offset:32
	;; [unrolled: 1-line block ×7, first 2 shown]
.LBB0_17:
	s_wait_alu 0xfffe
	s_or_b32 exec_lo, exec_lo, s1
	global_wb scope:SCOPE_SE
	s_wait_dscnt 0x0
	s_barrier_signal -1
	s_barrier_wait -1
	global_inv scope:SCOPE_SE
	ds_load_2addr_b64 v[37:40], v62 offset1:160
	s_wait_dscnt 0x0
	v_dual_mul_f32 v45, v21, v40 :: v_dual_add_nc_u32 v36, 0x800, v62
	ds_load_b64 v[32:33], v62 offset:5120
	ds_load_2addr_b64 v[41:44], v36 offset0:64 offset1:224
	v_mul_f32_e32 v21, v21, v39
	global_wb scope:SCOPE_SE
	s_wait_dscnt 0x0
	s_barrier_signal -1
	v_fmac_f32_e32 v45, v20, v39
	s_barrier_wait -1
	global_inv scope:SCOPE_SE
	v_mul_f32_e32 v46, v15, v33
	v_fma_f32 v39, v20, v40, -v21
	v_mul_f32_e32 v20, v23, v41
	v_mul_f32_e32 v21, v23, v42
	;; [unrolled: 1-line block ×4, first 2 shown]
	v_fmac_f32_e32 v46, v14, v32
	s_delay_alu instid0(VALU_DEP_4) | instskip(SKIP_4) | instid1(VALU_DEP_4)
	v_fmac_f32_e32 v21, v22, v41
	v_mul_f32_e32 v13, v13, v43
	v_fma_f32 v41, v22, v42, -v20
	v_add_f32_e32 v20, v38, v39
	v_dual_fmac_f32 v23, v12, v43 :: v_dual_sub_f32 v42, v45, v46
	v_fma_f32 v13, v12, v44, -v13
	v_add_f32_e32 v12, v37, v45
	v_fma_f32 v40, v14, v33, -v15
	v_add_f32_e32 v14, v45, v46
	v_add_f32_e32 v32, v21, v23
	v_dual_sub_f32 v43, v41, v13 :: v_dual_sub_f32 v44, v46, v23
	s_delay_alu instid0(VALU_DEP_4) | instskip(SKIP_4) | instid1(VALU_DEP_4)
	v_dual_sub_f32 v15, v39, v40 :: v_dual_add_f32 v12, v12, v21
	v_sub_f32_e32 v33, v45, v21
	v_fma_f32 v22, -0.5, v14, v37
	v_dual_sub_f32 v14, v21, v45 :: v_dual_sub_f32 v45, v23, v46
	v_fma_f32 v32, -0.5, v32, v37
	v_dual_add_f32 v12, v12, v23 :: v_dual_add_f32 v37, v33, v44
	v_add_f32_e32 v48, v41, v13
	s_delay_alu instid0(VALU_DEP_4) | instskip(NEXT) | instid1(VALU_DEP_4)
	v_add_f32_e32 v44, v14, v45
	v_fmamk_f32 v14, v15, 0xbf737871, v32
	v_dual_fmac_f32 v32, 0x3f737871, v15 :: v_dual_add_f32 v47, v20, v41
	v_fmamk_f32 v20, v43, 0x3f737871, v22
	v_fmac_f32_e32 v22, 0xbf737871, v43
	s_delay_alu instid0(VALU_DEP_4) | instskip(NEXT) | instid1(VALU_DEP_4)
	v_fmac_f32_e32 v14, 0xbf167918, v43
	v_fmac_f32_e32 v32, 0x3f167918, v43
	v_fma_f32 v33, -0.5, v48, v38
	s_delay_alu instid0(VALU_DEP_3) | instskip(NEXT) | instid1(VALU_DEP_3)
	v_dual_sub_f32 v43, v21, v23 :: v_dual_fmac_f32 v14, 0x3e9e377a, v37
	v_dual_fmac_f32 v32, 0x3e9e377a, v37 :: v_dual_add_f32 v37, v39, v40
	s_delay_alu instid0(VALU_DEP_1) | instskip(SKIP_2) | instid1(VALU_DEP_3)
	v_fma_f32 v23, -0.5, v37, v38
	v_sub_f32_e32 v37, v39, v41
	v_dual_sub_f32 v38, v40, v13 :: v_dual_sub_f32 v39, v41, v39
	v_fmamk_f32 v21, v43, 0xbf737871, v23
	v_fmac_f32_e32 v22, 0x3f167918, v15
	v_fmac_f32_e32 v23, 0x3f737871, v43
	;; [unrolled: 1-line block ×3, first 2 shown]
	v_fmamk_f32 v15, v42, 0x3f737871, v33
	v_fmac_f32_e32 v33, 0xbf737871, v42
	v_add_f32_e32 v12, v12, v46
	v_add_f32_e32 v37, v37, v38
	v_fmac_f32_e32 v21, 0x3f167918, v42
	v_fmac_f32_e32 v15, 0x3f167918, v43
	;; [unrolled: 1-line block ×5, first 2 shown]
	s_delay_alu instid0(VALU_DEP_4) | instskip(SKIP_2) | instid1(VALU_DEP_2)
	v_dual_fmac_f32 v20, 0x3e9e377a, v44 :: v_dual_fmac_f32 v15, 0x3e9e377a, v37
	v_dual_add_f32 v44, v47, v13 :: v_dual_sub_f32 v13, v13, v40
	v_fmac_f32_e32 v33, 0x3e9e377a, v37
	v_add_f32_e32 v38, v39, v13
	s_delay_alu instid0(VALU_DEP_1) | instskip(NEXT) | instid1(VALU_DEP_4)
	v_fmac_f32_e32 v21, 0x3e9e377a, v38
	v_add_f32_e32 v13, v44, v40
	v_fmac_f32_e32 v23, 0x3e9e377a, v38
	ds_store_2addr_b64 v64, v[12:13], v[14:15] offset1:16
	ds_store_2addr_b64 v64, v[20:21], v[22:23] offset0:32 offset1:48
	ds_store_b64 v64, v[32:33] offset:512
	global_wb scope:SCOPE_SE
	s_wait_dscnt 0x0
	s_barrier_signal -1
	s_barrier_wait -1
	global_inv scope:SCOPE_SE
	s_and_saveexec_b32 s1, s0
	s_cbranch_execz .LBB0_19
; %bb.18:
	v_add_nc_u32_e32 v24, 0xc00, v62
	v_add_nc_u32_e32 v25, 0x1000, v62
	ds_load_2addr_b64 v[12:15], v62 offset1:80
	ds_load_2addr_b64 v[20:23], v62 offset0:160 offset1:240
	ds_load_2addr_b64 v[32:35], v36 offset0:64 offset1:144
	ds_load_2addr_b64 v[28:31], v24 offset0:96 offset1:176
	ds_load_2addr_b64 v[24:27], v25 offset0:128 offset1:208
.LBB0_19:
	s_wait_alu 0xfffe
	s_or_b32 exec_lo, exec_lo, s1
	s_and_saveexec_b32 s1, s0
	s_cbranch_execz .LBB0_21
; %bb.20:
	s_wait_dscnt 0x0
	v_mul_f32_e32 v39, v11, v24
	v_mul_f32_e32 v40, v7, v21
	;; [unrolled: 1-line block ×5, first 2 shown]
	v_fma_f32 v25, v10, v25, -v39
	v_fmac_f32_e32 v40, v6, v20
	v_dual_fmac_f32 v11, v10, v24 :: v_dual_mul_f32 v24, v3, v33
	v_mul_f32_e32 v36, v3, v32
	v_mul_f32_e32 v19, v19, v29
	s_delay_alu instid0(VALU_DEP_3) | instskip(NEXT) | instid1(VALU_DEP_3)
	v_dual_sub_f32 v3, v40, v11 :: v_dual_fmac_f32 v24, v2, v32
	v_fma_f32 v36, v2, v33, -v36
	v_mul_f32_e32 v2, v61, v27
	v_fma_f32 v37, v18, v29, -v37
	v_mul_f32_e32 v29, v1, v23
	v_fma_f32 v21, v6, v21, -v38
	v_dual_fmac_f32 v19, v18, v28 :: v_dual_mul_f32 v18, v9, v31
	s_delay_alu instid0(VALU_DEP_4) | instskip(NEXT) | instid1(VALU_DEP_3)
	v_add_f32_e32 v7, v37, v36
	v_dual_fmac_f32 v29, v0, v22 :: v_dual_sub_f32 v6, v21, v36
	s_delay_alu instid0(VALU_DEP_3) | instskip(NEXT) | instid1(VALU_DEP_3)
	v_dual_mul_f32 v1, v1, v22 :: v_dual_sub_f32 v32, v24, v19
	v_fma_f32 v20, -0.5, v7, v13
	v_fmac_f32_e32 v18, v8, v30
	v_mul_f32_e32 v7, v17, v34
	s_delay_alu instid0(VALU_DEP_4) | instskip(SKIP_2) | instid1(VALU_DEP_4)
	v_fma_f32 v0, v0, v23, -v1
	v_sub_f32_e32 v10, v25, v37
	v_dual_mul_f32 v33, v17, v35 :: v_dual_fmac_f32 v2, v60, v26
	v_fma_f32 v7, v16, v35, -v7
	v_mul_f32_e32 v9, v9, v30
	s_delay_alu instid0(VALU_DEP_4) | instskip(NEXT) | instid1(VALU_DEP_3)
	v_dual_add_f32 v6, v10, v6 :: v_dual_sub_f32 v35, v36, v21
	v_dual_add_f32 v39, v2, v29 :: v_dual_sub_f32 v22, v0, v7
	s_delay_alu instid0(VALU_DEP_3) | instskip(SKIP_1) | instid1(VALU_DEP_2)
	v_fma_f32 v8, v8, v31, -v9
	v_dual_mul_f32 v9, v61, v26 :: v_dual_sub_f32 v44, v7, v0
	v_sub_f32_e32 v31, v7, v8
	s_delay_alu instid0(VALU_DEP_2) | instskip(SKIP_2) | instid1(VALU_DEP_2)
	v_fma_f32 v9, v60, v27, -v9
	v_mul_f32_e32 v17, v5, v15
	v_mul_f32_e32 v5, v5, v14
	v_dual_add_f32 v38, v9, v0 :: v_dual_fmac_f32 v17, v4, v14
	s_delay_alu instid0(VALU_DEP_2) | instskip(SKIP_1) | instid1(VALU_DEP_2)
	v_fma_f32 v4, v4, v15, -v5
	v_add_f32_e32 v5, v8, v7
	v_fma_f32 v38, -0.5, v38, v4
	s_delay_alu instid0(VALU_DEP_2) | instskip(SKIP_1) | instid1(VALU_DEP_1)
	v_fma_f32 v15, -0.5, v5, v4
	v_sub_f32_e32 v5, v29, v2
	v_fmamk_f32 v26, v5, 0xbf737871, v15
	v_fmac_f32_e32 v33, v16, v34
	v_sub_f32_e32 v16, v0, v9
	v_add_f32_e32 v34, v25, v21
	s_delay_alu instid0(VALU_DEP_3) | instskip(SKIP_1) | instid1(VALU_DEP_3)
	v_dual_add_f32 v0, v0, v4 :: v_dual_sub_f32 v27, v33, v18
	v_sub_f32_e32 v41, v37, v25
	v_fma_f32 v34, -0.5, v34, v13
	s_delay_alu instid0(VALU_DEP_3) | instskip(NEXT) | instid1(VALU_DEP_4)
	v_add_f32_e32 v0, v7, v0
	v_fmamk_f32 v46, v27, 0x3f737871, v38
	v_dual_fmac_f32 v26, 0xbf167918, v27 :: v_dual_sub_f32 v1, v29, v33
	v_dual_add_f32 v14, v18, v33 :: v_dual_sub_f32 v23, v9, v8
	v_sub_f32_e32 v28, v2, v18
	v_dual_sub_f32 v42, v33, v29 :: v_dual_sub_f32 v43, v18, v2
	s_delay_alu instid0(VALU_DEP_3) | instskip(NEXT) | instid1(VALU_DEP_4)
	v_fma_f32 v14, -0.5, v14, v17
	v_add_f32_e32 v22, v23, v22
	s_delay_alu instid0(VALU_DEP_4) | instskip(NEXT) | instid1(VALU_DEP_4)
	v_dual_fmamk_f32 v23, v3, 0xbf737871, v20 :: v_dual_add_f32 v28, v28, v1
	v_dual_sub_f32 v45, v8, v9 :: v_dual_add_f32 v42, v43, v42
	s_delay_alu instid0(VALU_DEP_4) | instskip(NEXT) | instid1(VALU_DEP_3)
	v_fmamk_f32 v30, v16, 0x3f737871, v14
	v_fmac_f32_e32 v23, 0xbf167918, v32
	v_fmac_f32_e32 v26, 0x3e9e377a, v22
	s_delay_alu instid0(VALU_DEP_4) | instskip(NEXT) | instid1(VALU_DEP_4)
	v_dual_fmamk_f32 v48, v32, 0x3f737871, v34 :: v_dual_add_f32 v43, v45, v44
	v_fmac_f32_e32 v30, 0x3f167918, v31
	s_delay_alu instid0(VALU_DEP_4) | instskip(NEXT) | instid1(VALU_DEP_4)
	v_fmac_f32_e32 v23, 0x3e9e377a, v6
	v_mul_f32_e32 v10, 0xbf4f1bbd, v26
	v_fma_f32 v39, -0.5, v39, v17
	v_fmac_f32_e32 v38, 0xbf737871, v27
	v_fmac_f32_e32 v30, 0x3e9e377a, v28
	v_dual_fmac_f32 v46, 0xbf167918, v5 :: v_dual_add_f32 v35, v41, v35
	s_delay_alu instid0(VALU_DEP_4) | instskip(NEXT) | instid1(VALU_DEP_3)
	v_dual_fmamk_f32 v47, v31, 0xbf737871, v39 :: v_dual_fmac_f32 v34, 0xbf737871, v32
	v_fmac_f32_e32 v10, 0x3f167918, v30
	v_fmac_f32_e32 v39, 0x3f737871, v31
	s_delay_alu instid0(VALU_DEP_3) | instskip(NEXT) | instid1(VALU_DEP_3)
	v_dual_fmac_f32 v38, 0x3f167918, v5 :: v_dual_fmac_f32 v47, 0x3f167918, v16
	v_dual_fmac_f32 v46, 0x3e9e377a, v43 :: v_dual_sub_f32 v1, v23, v10
	v_dual_fmac_f32 v15, 0x3f737871, v5 :: v_dual_fmac_f32 v20, 0x3f737871, v3
	s_delay_alu instid0(VALU_DEP_4) | instskip(NEXT) | instid1(VALU_DEP_4)
	v_dual_fmac_f32 v48, 0xbf167918, v3 :: v_dual_fmac_f32 v39, 0xbf167918, v16
	v_fmac_f32_e32 v47, 0x3e9e377a, v42
	s_delay_alu instid0(VALU_DEP_4) | instskip(NEXT) | instid1(VALU_DEP_4)
	v_mul_f32_e32 v41, 0xbe9e377a, v46
	v_dual_fmac_f32 v15, 0x3f167918, v27 :: v_dual_fmac_f32 v20, 0x3f167918, v32
	v_dual_fmac_f32 v38, 0x3e9e377a, v43 :: v_dual_add_f32 v5, v21, v13
	v_fmac_f32_e32 v34, 0x3f167918, v3
	v_dual_fmac_f32 v48, 0x3e9e377a, v35 :: v_dual_fmac_f32 v39, 0x3e9e377a, v42
	v_dual_fmac_f32 v41, 0x3f737871, v47 :: v_dual_add_f32 v0, v8, v0
	v_fmac_f32_e32 v15, 0x3e9e377a, v22
	s_delay_alu instid0(VALU_DEP_4) | instskip(SKIP_3) | instid1(VALU_DEP_4)
	v_dual_add_f32 v3, v36, v5 :: v_dual_fmac_f32 v34, 0x3e9e377a, v35
	v_mul_f32_e32 v35, 0x3e9e377a, v38
	v_fmac_f32_e32 v14, 0xbf737871, v16
	v_add_f32_e32 v27, v9, v0
	v_dual_add_f32 v3, v37, v3 :: v_dual_add_f32 v0, v19, v24
	s_delay_alu instid0(VALU_DEP_4) | instskip(NEXT) | instid1(VALU_DEP_4)
	v_fmac_f32_e32 v35, 0x3f737871, v39
	v_fmac_f32_e32 v14, 0xbf167918, v31
	v_dual_sub_f32 v31, v19, v11 :: v_dual_fmac_f32 v20, 0x3e9e377a, v6
	s_delay_alu instid0(VALU_DEP_3) | instskip(NEXT) | instid1(VALU_DEP_3)
	v_dual_sub_f32 v6, v40, v24 :: v_dual_sub_f32 v5, v34, v35
	v_fmac_f32_e32 v14, 0x3e9e377a, v28
	v_fma_f32 v28, -0.5, v0, v12
	v_sub_f32_e32 v0, v21, v25
	v_add_f32_e32 v4, v11, v40
	v_add_f32_e32 v22, v25, v3
	v_dual_mul_f32 v16, 0x3f4f1bbd, v15 :: v_dual_sub_f32 v13, v24, v40
	s_delay_alu instid0(VALU_DEP_4) | instskip(NEXT) | instid1(VALU_DEP_4)
	v_fmamk_f32 v25, v0, 0x3f737871, v28
	v_fma_f32 v21, -0.5, v4, v12
	v_dual_sub_f32 v4, v11, v19 :: v_dual_sub_f32 v3, v48, v41
	s_delay_alu instid0(VALU_DEP_4) | instskip(SKIP_1) | instid1(VALU_DEP_3)
	v_dual_fmac_f32 v16, 0x3f167918, v14 :: v_dual_sub_f32 v9, v22, v27
	v_fmac_f32_e32 v28, 0xbf737871, v0
	v_add_f32_e32 v4, v4, v6
	v_sub_f32_e32 v8, v36, v37
	v_add_f32_e32 v6, v31, v13
	v_add_f32_e32 v13, v29, v17
	v_mul_f32_e32 v29, 0xbf167918, v15
	v_sub_f32_e32 v7, v20, v16
	v_fmac_f32_e32 v25, 0x3f167918, v8
	v_add_f32_e32 v17, v20, v16
	v_add_f32_e32 v15, v34, v35
	v_fmac_f32_e32 v29, 0x3f4f1bbd, v14
	v_add_nc_u32_e32 v20, 0x800, v62
	v_fmac_f32_e32 v25, 0x3e9e377a, v4
	v_fmamk_f32 v32, v8, 0xbf737871, v21
	v_fmac_f32_e32 v21, 0x3f737871, v8
	v_mul_f32_e32 v26, 0xbf167918, v26
	v_fmac_f32_e32 v28, 0xbf167918, v8
	s_delay_alu instid0(VALU_DEP_4) | instskip(NEXT) | instid1(VALU_DEP_4)
	v_fmac_f32_e32 v32, 0x3f167918, v0
	v_fmac_f32_e32 v21, 0xbf167918, v0
	v_add_f32_e32 v12, v40, v12
	v_fmac_f32_e32 v26, 0xbf4f1bbd, v30
	v_mul_f32_e32 v30, 0xbf737871, v46
	v_fmac_f32_e32 v32, 0x3e9e377a, v6
	s_delay_alu instid0(VALU_DEP_4)
	v_dual_fmac_f32 v21, 0x3e9e377a, v6 :: v_dual_add_f32 v0, v24, v12
	v_add_f32_e32 v6, v33, v13
	v_mul_f32_e32 v24, 0xbf737871, v38
	v_fmac_f32_e32 v28, 0x3e9e377a, v4
	v_fmac_f32_e32 v30, 0xbe9e377a, v47
	v_add_f32_e32 v0, v19, v0
	v_add_f32_e32 v6, v18, v6
	v_fmac_f32_e32 v24, 0x3e9e377a, v39
	v_dual_add_f32 v19, v22, v27 :: v_dual_add_f32 v16, v28, v29
	s_delay_alu instid0(VALU_DEP_4) | instskip(NEXT) | instid1(VALU_DEP_4)
	v_add_f32_e32 v14, v11, v0
	v_dual_add_f32 v18, v2, v6 :: v_dual_add_f32 v13, v48, v41
	v_add_f32_e32 v12, v32, v30
	v_add_f32_e32 v11, v23, v10
	;; [unrolled: 1-line block ×3, first 2 shown]
	s_delay_alu instid0(VALU_DEP_4)
	v_sub_f32_e32 v8, v14, v18
	v_add_f32_e32 v18, v14, v18
	v_add_f32_e32 v14, v21, v24
	v_dual_sub_f32 v4, v21, v24 :: v_dual_add_nc_u32 v21, 0xc00, v62
	v_sub_f32_e32 v6, v28, v29
	v_sub_f32_e32 v0, v25, v26
	;; [unrolled: 1-line block ×3, first 2 shown]
	v_add_nc_u32_e32 v22, 0x1000, v62
	ds_store_2addr_b64 v62, v[18:19], v[16:17] offset1:80
	ds_store_2addr_b64 v62, v[14:15], v[12:13] offset0:160 offset1:240
	ds_store_2addr_b64 v20, v[10:11], v[8:9] offset0:64 offset1:144
	;; [unrolled: 1-line block ×4, first 2 shown]
.LBB0_21:
	s_wait_alu 0xfffe
	s_or_b32 exec_lo, exec_lo, s1
	global_wb scope:SCOPE_SE
	s_wait_dscnt 0x0
	s_barrier_signal -1
	s_barrier_wait -1
	global_inv scope:SCOPE_SE
	s_and_b32 exec_lo, exec_lo, vcc_lo
	s_cbranch_execz .LBB0_23
; %bb.22:
	s_clause 0xb
	global_load_b64 v[24:25], v62, s[8:9]
	global_load_b64 v[26:27], v62, s[8:9] offset:400
	global_load_b64 v[28:29], v62, s[8:9] offset:800
	;; [unrolled: 1-line block ×11, first 2 shown]
	v_mad_co_u64_u32 v[12:13], null, s6, v59, 0
	v_mad_co_u64_u32 v[48:49], null, s4, v63, 0
	s_mov_b32 s2, 0x47ae147b
	s_mov_b32 s3, 0x3f547ae1
	s_mul_u64 s[0:1], s[4:5], 0x190
	s_delay_alu instid0(VALU_DEP_2) | instskip(NEXT) | instid1(VALU_DEP_1)
	v_mov_b32_e32 v0, v13
	v_mad_co_u64_u32 v[8:9], null, s7, v59, v[0:1]
	v_add_nc_u32_e32 v9, 0x400, v62
	ds_load_b64 v[50:51], v62
	ds_load_2addr_b64 v[0:3], v62 offset0:50 offset1:100
	v_dual_mov_b32 v4, v49 :: v_dual_add_nc_u32 v65, 0x1000, v62
	v_mov_b32_e32 v13, v8
	s_delay_alu instid0(VALU_DEP_2)
	v_mad_co_u64_u32 v[14:15], null, s5, v63, v[4:5]
	v_add_nc_u32_e32 v16, 0x800, v62
	ds_load_2addr_b64 v[4:7], v62 offset0:150 offset1:200
	ds_load_b64 v[52:53], v62 offset:6000
	ds_load_2addr_b64 v[8:11], v9 offset0:122 offset1:172
	v_lshlrev_b64_e32 v[54:55], 3, v[12:13]
	v_mov_b32_e32 v49, v14
	s_delay_alu instid0(VALU_DEP_2) | instskip(NEXT) | instid1(VALU_DEP_2)
	v_add_co_u32 v54, vcc_lo, s12, v54
	v_lshlrev_b64_e32 v[48:49], 3, v[48:49]
	s_delay_alu instid0(VALU_DEP_4) | instskip(NEXT) | instid1(VALU_DEP_2)
	v_add_co_ci_u32_e32 v55, vcc_lo, s13, v55, vcc_lo
	v_add_co_u32 v48, vcc_lo, v54, v48
	s_wait_alu 0xfffd
	s_delay_alu instid0(VALU_DEP_2) | instskip(SKIP_1) | instid1(VALU_DEP_2)
	v_add_co_ci_u32_e32 v49, vcc_lo, v55, v49, vcc_lo
	s_wait_alu 0xfffe
	v_add_co_u32 v54, vcc_lo, v48, s0
	s_wait_alu 0xfffd
	s_delay_alu instid0(VALU_DEP_2)
	v_add_co_ci_u32_e32 v55, vcc_lo, s1, v49, vcc_lo
	s_wait_loadcnt_dscnt 0xb04
	v_mul_f32_e32 v56, v51, v25
	ds_load_2addr_b64 v[12:15], v16 offset0:94 offset1:144
	ds_load_2addr_b64 v[16:19], v16 offset0:194 offset1:244
	;; [unrolled: 1-line block ×3, first 2 shown]
	v_mul_f32_e32 v25, v50, v25
	s_wait_loadcnt_dscnt 0x906
	v_dual_mul_f32 v57, v1, v27 :: v_dual_mul_f32 v58, v3, v29
	s_wait_loadcnt_dscnt 0x705
	v_dual_mul_f32 v27, v0, v27 :: v_dual_mul_f32 v60, v7, v33
	v_mul_f32_e32 v59, v5, v31
	v_mul_f32_e32 v31, v4, v31
	;; [unrolled: 1-line block ×3, first 2 shown]
	s_wait_loadcnt_dscnt 0x603
	v_dual_mul_f32 v61, v9, v35 :: v_dual_fmac_f32 v56, v50, v24
	v_dual_mul_f32 v35, v8, v35 :: v_dual_fmac_f32 v58, v2, v28
	s_wait_loadcnt 0x5
	v_dual_mul_f32 v63, v11, v37 :: v_dual_fmac_f32 v60, v6, v32
	v_mul_f32_e32 v37, v10, v37
	v_fmac_f32_e32 v57, v0, v26
	s_wait_loadcnt_dscnt 0x402
	v_dual_fmac_f32 v61, v8, v34 :: v_dual_mul_f32 v64, v13, v39
	v_mul_f32_e32 v29, v2, v29
	v_fma_f32 v24, v24, v51, -v25
	v_fma_f32 v25, v26, v1, -v27
	s_wait_loadcnt 0x3
	v_mul_f32_e32 v66, v15, v41
	v_fmac_f32_e32 v64, v12, v38
	v_mul_f32_e32 v39, v12, v39
	v_fma_f32 v26, v28, v3, -v29
	v_mul_f32_e32 v41, v14, v41
	s_wait_loadcnt_dscnt 0x101
	v_dual_mul_f32 v68, v19, v45 :: v_dual_fmac_f32 v59, v4, v30
	v_fma_f32 v27, v30, v5, -v31
	v_mul_f32_e32 v67, v17, v43
	v_mul_f32_e32 v43, v16, v43
	;; [unrolled: 1-line block ×3, first 2 shown]
	v_fma_f32 v28, v32, v7, -v33
	s_wait_loadcnt_dscnt 0x0
	v_mul_f32_e32 v69, v21, v47
	v_mul_f32_e32 v47, v20, v47
	v_fma_f32 v29, v34, v9, -v35
	v_cvt_f64_f32_e32 v[0:1], v56
	v_cvt_f64_f32_e32 v[2:3], v24
	v_fmac_f32_e32 v63, v10, v36
	v_fma_f32 v30, v36, v11, -v37
	v_cvt_f64_f32_e32 v[4:5], v57
	v_cvt_f64_f32_e32 v[6:7], v25
	v_fmac_f32_e32 v66, v14, v40
	v_fma_f32 v32, v38, v13, -v39
	v_cvt_f64_f32_e32 v[8:9], v58
	v_cvt_f64_f32_e32 v[10:11], v26
	v_fma_f32 v36, v40, v15, -v41
	v_cvt_f64_f32_e32 v[12:13], v59
	v_cvt_f64_f32_e32 v[14:15], v27
	v_fma_f32 v40, v42, v17, -v43
	v_dual_fmac_f32 v68, v18, v44 :: v_dual_fmac_f32 v67, v16, v42
	v_fma_f32 v44, v44, v19, -v45
	v_cvt_f64_f32_e32 v[16:17], v60
	v_cvt_f64_f32_e32 v[18:19], v28
	v_fmac_f32_e32 v69, v20, v46
	v_fma_f32 v50, v46, v21, -v47
	v_cvt_f64_f32_e32 v[20:21], v61
	v_cvt_f64_f32_e32 v[24:25], v29
	v_cvt_f64_f32_e32 v[26:27], v63
	v_cvt_f64_f32_e32 v[28:29], v30
	v_cvt_f64_f32_e32 v[30:31], v64
	v_cvt_f64_f32_e32 v[32:33], v32
	v_cvt_f64_f32_e32 v[34:35], v66
	v_cvt_f64_f32_e32 v[36:37], v36
	v_cvt_f64_f32_e32 v[38:39], v67
	v_cvt_f64_f32_e32 v[40:41], v40
	v_cvt_f64_f32_e32 v[42:43], v68
	v_cvt_f64_f32_e32 v[44:45], v44
	v_cvt_f64_f32_e32 v[46:47], v69
	v_cvt_f64_f32_e32 v[50:51], v50
	v_add_co_u32 v56, vcc_lo, v54, s0
	s_wait_alu 0xfffd
	v_add_co_ci_u32_e32 v57, vcc_lo, s1, v55, vcc_lo
	v_mul_f64_e32 v[0:1], s[2:3], v[0:1]
	v_mul_f64_e32 v[2:3], s[2:3], v[2:3]
	v_add_co_u32 v58, vcc_lo, v56, s0
	v_mul_f64_e32 v[4:5], s[2:3], v[4:5]
	v_mul_f64_e32 v[6:7], s[2:3], v[6:7]
	s_wait_alu 0xfffd
	v_add_co_ci_u32_e32 v59, vcc_lo, s1, v57, vcc_lo
	v_mul_f64_e32 v[8:9], s[2:3], v[8:9]
	v_mul_f64_e32 v[10:11], s[2:3], v[10:11]
	;; [unrolled: 1-line block ×4, first 2 shown]
	v_add_co_u32 v60, vcc_lo, v58, s0
	s_wait_alu 0xfffd
	v_add_co_ci_u32_e32 v61, vcc_lo, s1, v59, vcc_lo
	v_mul_f64_e32 v[16:17], s[2:3], v[16:17]
	v_mul_f64_e32 v[18:19], s[2:3], v[18:19]
	v_add_co_u32 v63, vcc_lo, v60, s0
	v_mul_f64_e32 v[20:21], s[2:3], v[20:21]
	v_mul_f64_e32 v[24:25], s[2:3], v[24:25]
	;; [unrolled: 1-line block ×14, first 2 shown]
	s_wait_alu 0xfffd
	v_add_co_ci_u32_e32 v64, vcc_lo, s1, v61, vcc_lo
	v_cvt_f32_f64_e32 v0, v[0:1]
	v_cvt_f32_f64_e32 v1, v[2:3]
	;; [unrolled: 1-line block ×24, first 2 shown]
	v_add_co_u32 v26, vcc_lo, v63, s0
	s_wait_alu 0xfffd
	v_add_co_ci_u32_e32 v27, vcc_lo, s1, v64, vcc_lo
	s_delay_alu instid0(VALU_DEP_2) | instskip(SKIP_1) | instid1(VALU_DEP_2)
	v_add_co_u32 v28, vcc_lo, v26, s0
	s_wait_alu 0xfffd
	v_add_co_ci_u32_e32 v29, vcc_lo, s1, v27, vcc_lo
	s_delay_alu instid0(VALU_DEP_2) | instskip(SKIP_1) | instid1(VALU_DEP_2)
	;; [unrolled: 4-line block ×5, first 2 shown]
	v_add_co_u32 v36, vcc_lo, v34, s0
	s_wait_alu 0xfffd
	v_add_co_ci_u32_e32 v37, vcc_lo, s1, v35, vcc_lo
	s_clause 0x4
	global_store_b64 v[48:49], v[0:1], off
	global_store_b64 v[54:55], v[2:3], off
	global_store_b64 v[56:57], v[4:5], off
	global_store_b64 v[58:59], v[6:7], off
	global_store_b64 v[60:61], v[8:9], off
	global_store_b64 v[63:64], v[10:11], off
	global_store_b64 v[26:27], v[12:13], off
	global_store_b64 v[28:29], v[14:15], off
	global_store_b64 v[30:31], v[16:17], off
	global_store_b64 v[32:33], v[18:19], off
	global_store_b64 v[34:35], v[20:21], off
	global_store_b64 v[36:37], v[24:25], off
	global_load_b64 v[0:1], v62, s[8:9] offset:4800
	v_add_co_u32 v4, vcc_lo, v36, s0
	s_wait_alu 0xfffd
	v_add_co_ci_u32_e32 v5, vcc_lo, s1, v37, vcc_lo
	s_wait_loadcnt 0x0
	v_mul_f32_e32 v2, v23, v1
	v_mul_f32_e32 v1, v22, v1
	s_delay_alu instid0(VALU_DEP_2) | instskip(NEXT) | instid1(VALU_DEP_2)
	v_fmac_f32_e32 v2, v22, v0
	v_fma_f32 v3, v0, v23, -v1
	s_delay_alu instid0(VALU_DEP_2) | instskip(NEXT) | instid1(VALU_DEP_2)
	v_cvt_f64_f32_e32 v[0:1], v2
	v_cvt_f64_f32_e32 v[2:3], v3
	s_delay_alu instid0(VALU_DEP_2) | instskip(NEXT) | instid1(VALU_DEP_2)
	v_mul_f64_e32 v[0:1], s[2:3], v[0:1]
	v_mul_f64_e32 v[2:3], s[2:3], v[2:3]
	s_delay_alu instid0(VALU_DEP_2) | instskip(NEXT) | instid1(VALU_DEP_2)
	v_cvt_f32_f64_e32 v0, v[0:1]
	v_cvt_f32_f64_e32 v1, v[2:3]
	global_store_b64 v[4:5], v[0:1], off
	global_load_b64 v[6:7], v62, s[8:9] offset:5200
	ds_load_2addr_b64 v[0:3], v65 offset0:138 offset1:188
	v_add_co_u32 v4, vcc_lo, v4, s0
	s_wait_alu 0xfffd
	v_add_co_ci_u32_e32 v5, vcc_lo, s1, v5, vcc_lo
	s_wait_loadcnt_dscnt 0x0
	v_mul_f32_e32 v8, v1, v7
	v_mul_f32_e32 v7, v0, v7
	s_delay_alu instid0(VALU_DEP_2) | instskip(NEXT) | instid1(VALU_DEP_2)
	v_fmac_f32_e32 v8, v0, v6
	v_fma_f32 v6, v6, v1, -v7
	s_delay_alu instid0(VALU_DEP_2) | instskip(NEXT) | instid1(VALU_DEP_2)
	v_cvt_f64_f32_e32 v[0:1], v8
	v_cvt_f64_f32_e32 v[6:7], v6
	s_delay_alu instid0(VALU_DEP_2) | instskip(NEXT) | instid1(VALU_DEP_2)
	v_mul_f64_e32 v[0:1], s[2:3], v[0:1]
	v_mul_f64_e32 v[6:7], s[2:3], v[6:7]
	s_delay_alu instid0(VALU_DEP_2) | instskip(NEXT) | instid1(VALU_DEP_2)
	v_cvt_f32_f64_e32 v0, v[0:1]
	v_cvt_f32_f64_e32 v1, v[6:7]
	global_store_b64 v[4:5], v[0:1], off
	global_load_b64 v[0:1], v62, s[8:9] offset:5600
	s_wait_loadcnt 0x0
	v_mul_f32_e32 v6, v3, v1
	v_mul_f32_e32 v1, v2, v1
	s_delay_alu instid0(VALU_DEP_2) | instskip(NEXT) | instid1(VALU_DEP_2)
	v_fmac_f32_e32 v6, v2, v0
	v_fma_f32 v2, v0, v3, -v1
	s_delay_alu instid0(VALU_DEP_2) | instskip(NEXT) | instid1(VALU_DEP_2)
	v_cvt_f64_f32_e32 v[0:1], v6
	v_cvt_f64_f32_e32 v[2:3], v2
	s_delay_alu instid0(VALU_DEP_2) | instskip(NEXT) | instid1(VALU_DEP_2)
	v_mul_f64_e32 v[0:1], s[2:3], v[0:1]
	v_mul_f64_e32 v[2:3], s[2:3], v[2:3]
	s_delay_alu instid0(VALU_DEP_2) | instskip(NEXT) | instid1(VALU_DEP_2)
	v_cvt_f32_f64_e32 v0, v[0:1]
	v_cvt_f32_f64_e32 v1, v[2:3]
	v_add_co_u32 v2, vcc_lo, v4, s0
	s_wait_alu 0xfffd
	v_add_co_ci_u32_e32 v3, vcc_lo, s1, v5, vcc_lo
	global_store_b64 v[2:3], v[0:1], off
	global_load_b64 v[0:1], v62, s[8:9] offset:6000
	v_add_co_u32 v2, vcc_lo, v2, s0
	s_wait_alu 0xfffd
	v_add_co_ci_u32_e32 v3, vcc_lo, s1, v3, vcc_lo
	s_wait_loadcnt 0x0
	v_mul_f32_e32 v4, v53, v1
	v_mul_f32_e32 v1, v52, v1
	s_delay_alu instid0(VALU_DEP_2) | instskip(NEXT) | instid1(VALU_DEP_2)
	v_fmac_f32_e32 v4, v52, v0
	v_fma_f32 v5, v0, v53, -v1
	s_delay_alu instid0(VALU_DEP_2) | instskip(NEXT) | instid1(VALU_DEP_2)
	v_cvt_f64_f32_e32 v[0:1], v4
	v_cvt_f64_f32_e32 v[4:5], v5
	s_delay_alu instid0(VALU_DEP_2) | instskip(NEXT) | instid1(VALU_DEP_2)
	v_mul_f64_e32 v[0:1], s[2:3], v[0:1]
	v_mul_f64_e32 v[4:5], s[2:3], v[4:5]
	s_delay_alu instid0(VALU_DEP_2) | instskip(NEXT) | instid1(VALU_DEP_2)
	v_cvt_f32_f64_e32 v0, v[0:1]
	v_cvt_f32_f64_e32 v1, v[4:5]
	global_store_b64 v[2:3], v[0:1], off
.LBB0_23:
	s_nop 0
	s_sendmsg sendmsg(MSG_DEALLOC_VGPRS)
	s_endpgm
	.section	.rodata,"a",@progbits
	.p2align	6, 0x0
	.amdhsa_kernel bluestein_single_back_len800_dim1_sp_op_CI_CI
		.amdhsa_group_segment_fixed_size 6400
		.amdhsa_private_segment_fixed_size 0
		.amdhsa_kernarg_size 104
		.amdhsa_user_sgpr_count 2
		.amdhsa_user_sgpr_dispatch_ptr 0
		.amdhsa_user_sgpr_queue_ptr 0
		.amdhsa_user_sgpr_kernarg_segment_ptr 1
		.amdhsa_user_sgpr_dispatch_id 0
		.amdhsa_user_sgpr_private_segment_size 0
		.amdhsa_wavefront_size32 1
		.amdhsa_uses_dynamic_stack 0
		.amdhsa_enable_private_segment 0
		.amdhsa_system_sgpr_workgroup_id_x 1
		.amdhsa_system_sgpr_workgroup_id_y 0
		.amdhsa_system_sgpr_workgroup_id_z 0
		.amdhsa_system_sgpr_workgroup_info 0
		.amdhsa_system_vgpr_workitem_id 0
		.amdhsa_next_free_vgpr 139
		.amdhsa_next_free_sgpr 14
		.amdhsa_reserve_vcc 1
		.amdhsa_float_round_mode_32 0
		.amdhsa_float_round_mode_16_64 0
		.amdhsa_float_denorm_mode_32 3
		.amdhsa_float_denorm_mode_16_64 3
		.amdhsa_fp16_overflow 0
		.amdhsa_workgroup_processor_mode 1
		.amdhsa_memory_ordered 1
		.amdhsa_forward_progress 0
		.amdhsa_round_robin_scheduling 0
		.amdhsa_exception_fp_ieee_invalid_op 0
		.amdhsa_exception_fp_denorm_src 0
		.amdhsa_exception_fp_ieee_div_zero 0
		.amdhsa_exception_fp_ieee_overflow 0
		.amdhsa_exception_fp_ieee_underflow 0
		.amdhsa_exception_fp_ieee_inexact 0
		.amdhsa_exception_int_div_zero 0
	.end_amdhsa_kernel
	.text
.Lfunc_end0:
	.size	bluestein_single_back_len800_dim1_sp_op_CI_CI, .Lfunc_end0-bluestein_single_back_len800_dim1_sp_op_CI_CI
                                        ; -- End function
	.section	.AMDGPU.csdata,"",@progbits
; Kernel info:
; codeLenInByte = 10596
; NumSgprs: 16
; NumVgprs: 139
; ScratchSize: 0
; MemoryBound: 0
; FloatMode: 240
; IeeeMode: 1
; LDSByteSize: 6400 bytes/workgroup (compile time only)
; SGPRBlocks: 1
; VGPRBlocks: 17
; NumSGPRsForWavesPerEU: 16
; NumVGPRsForWavesPerEU: 139
; Occupancy: 10
; WaveLimiterHint : 1
; COMPUTE_PGM_RSRC2:SCRATCH_EN: 0
; COMPUTE_PGM_RSRC2:USER_SGPR: 2
; COMPUTE_PGM_RSRC2:TRAP_HANDLER: 0
; COMPUTE_PGM_RSRC2:TGID_X_EN: 1
; COMPUTE_PGM_RSRC2:TGID_Y_EN: 0
; COMPUTE_PGM_RSRC2:TGID_Z_EN: 0
; COMPUTE_PGM_RSRC2:TIDIG_COMP_CNT: 0
	.text
	.p2alignl 7, 3214868480
	.fill 96, 4, 3214868480
	.type	__hip_cuid_9949a953580e27f6,@object ; @__hip_cuid_9949a953580e27f6
	.section	.bss,"aw",@nobits
	.globl	__hip_cuid_9949a953580e27f6
__hip_cuid_9949a953580e27f6:
	.byte	0                               ; 0x0
	.size	__hip_cuid_9949a953580e27f6, 1

	.ident	"AMD clang version 19.0.0git (https://github.com/RadeonOpenCompute/llvm-project roc-6.4.0 25133 c7fe45cf4b819c5991fe208aaa96edf142730f1d)"
	.section	".note.GNU-stack","",@progbits
	.addrsig
	.addrsig_sym __hip_cuid_9949a953580e27f6
	.amdgpu_metadata
---
amdhsa.kernels:
  - .args:
      - .actual_access:  read_only
        .address_space:  global
        .offset:         0
        .size:           8
        .value_kind:     global_buffer
      - .actual_access:  read_only
        .address_space:  global
        .offset:         8
        .size:           8
        .value_kind:     global_buffer
      - .actual_access:  read_only
        .address_space:  global
        .offset:         16
        .size:           8
        .value_kind:     global_buffer
      - .actual_access:  read_only
        .address_space:  global
        .offset:         24
        .size:           8
        .value_kind:     global_buffer
      - .actual_access:  read_only
        .address_space:  global
        .offset:         32
        .size:           8
        .value_kind:     global_buffer
      - .offset:         40
        .size:           8
        .value_kind:     by_value
      - .address_space:  global
        .offset:         48
        .size:           8
        .value_kind:     global_buffer
      - .address_space:  global
        .offset:         56
        .size:           8
        .value_kind:     global_buffer
      - .address_space:  global
        .offset:         64
        .size:           8
        .value_kind:     global_buffer
      - .address_space:  global
        .offset:         72
        .size:           8
        .value_kind:     global_buffer
      - .offset:         80
        .size:           4
        .value_kind:     by_value
      - .address_space:  global
        .offset:         88
        .size:           8
        .value_kind:     global_buffer
      - .address_space:  global
        .offset:         96
        .size:           8
        .value_kind:     global_buffer
    .group_segment_fixed_size: 6400
    .kernarg_segment_align: 8
    .kernarg_segment_size: 104
    .language:       OpenCL C
    .language_version:
      - 2
      - 0
    .max_flat_workgroup_size: 160
    .name:           bluestein_single_back_len800_dim1_sp_op_CI_CI
    .private_segment_fixed_size: 0
    .sgpr_count:     16
    .sgpr_spill_count: 0
    .symbol:         bluestein_single_back_len800_dim1_sp_op_CI_CI.kd
    .uniform_work_group_size: 1
    .uses_dynamic_stack: false
    .vgpr_count:     139
    .vgpr_spill_count: 0
    .wavefront_size: 32
    .workgroup_processor_mode: 1
amdhsa.target:   amdgcn-amd-amdhsa--gfx1201
amdhsa.version:
  - 1
  - 2
...

	.end_amdgpu_metadata
